;; amdgpu-corpus repo=zjin-lcf/HeCBench kind=compiled arch=gfx1250 opt=O3
	.amdgcn_target "amdgcn-amd-amdhsa--gfx1250"
	.amdhsa_code_object_version 6
	.text
	.protected	_Z23upsample_forward_kernelPKfPfmmmm ; -- Begin function _Z23upsample_forward_kernelPKfPfmmmm
	.globl	_Z23upsample_forward_kernelPKfPfmmmm
	.p2align	8
	.type	_Z23upsample_forward_kernelPKfPfmmmm,@function
_Z23upsample_forward_kernelPKfPfmmmm:   ; @_Z23upsample_forward_kernelPKfPfmmmm
; %bb.0:
	s_clause 0x1
	s_load_b32 s2, s[0:1], 0x3c
	s_load_b256 s[4:11], s[0:1], 0x10
	s_bfe_u32 s3, ttmp6, 0x4000c
	v_mov_b32_e32 v2, 0
	s_add_co_i32 s3, s3, 1
	s_and_b32 s12, ttmp6, 15
	s_mul_i32 s3, ttmp9, s3
	s_getreg_b32 s13, hwreg(HW_REG_IB_STS2, 6, 4)
	v_mov_b32_e32 v1, v2
	s_add_co_i32 s12, s12, s3
	s_wait_kmcnt 0x0
	s_and_b32 s2, s2, 0xffff
	s_cmp_eq_u32 s13, 0
	s_cselect_b32 s3, ttmp9, s12
	s_mul_u64 s[12:13], s[10:11], s[8:9]
	v_mad_nc_u64_u32 v[0:1], s2, s3, v[0:1]
	s_mul_u64 s[14:15], s[12:13], s[6:7]
	s_delay_alu instid0(SALU_CYCLE_1)
	s_mul_u64 s[2:3], s[14:15], s[4:5]
	s_delay_alu instid0(VALU_DEP_1) | instid1(SALU_CYCLE_1)
	v_cmp_gt_u64_e32 vcc_lo, s[2:3], v[0:1]
	s_and_saveexec_b32 s2, vcc_lo
	s_cbranch_execz .LBB0_22
; %bb.1:
	v_or_b32_e32 v3, s15, v1
	s_delay_alu instid0(VALU_DEP_1) | instskip(SKIP_1) | instid1(SALU_CYCLE_1)
	v_cmp_ne_u64_e32 vcc_lo, 0, v[2:3]
                                        ; implicit-def: $vgpr2_vgpr3
	s_and_saveexec_b32 s2, vcc_lo
	s_xor_b32 s3, exec_lo, s2
	s_cbranch_execz .LBB0_3
; %bb.2:
	s_cvt_f32_u32 s2, s14
	s_cvt_f32_u32 s4, s15
	s_sub_nc_u64 s[16:17], 0, s[14:15]
	s_mov_b32 s21, 0
	v_dual_mov_b32 v3, 0 :: v_dual_mov_b32 v2, v0
	s_fmamk_f32 s2, s4, 0x4f800000, s2
	s_delay_alu instid0(SALU_CYCLE_3) | instskip(NEXT) | instid1(TRANS32_DEP_1)
	v_s_rcp_f32 s2, s2
	s_mul_f32 s2, s2, 0x5f7ffffc
	s_delay_alu instid0(SALU_CYCLE_3) | instskip(NEXT) | instid1(SALU_CYCLE_3)
	s_mul_f32 s4, s2, 0x2f800000
	s_trunc_f32 s4, s4
	s_delay_alu instid0(SALU_CYCLE_3) | instskip(SKIP_1) | instid1(SALU_CYCLE_2)
	s_fmamk_f32 s2, s4, 0xcf800000, s2
	s_cvt_u32_f32 s5, s4
	s_cvt_u32_f32 s4, s2
	s_delay_alu instid0(SALU_CYCLE_3) | instskip(NEXT) | instid1(SALU_CYCLE_1)
	s_mul_u64 s[18:19], s[16:17], s[4:5]
	s_mul_hi_u32 s23, s4, s19
	s_mul_i32 s22, s4, s19
	s_mul_hi_u32 s20, s4, s18
	s_mul_i32 s24, s5, s18
	s_add_nc_u64 s[22:23], s[20:21], s[22:23]
	s_mul_hi_u32 s2, s5, s18
	s_mul_hi_u32 s25, s5, s19
	s_mul_i32 s18, s5, s19
	s_add_co_u32 s19, s22, s24
	s_add_co_ci_u32 s20, s23, s2
	s_add_co_ci_u32 s19, s25, 0
	s_delay_alu instid0(SALU_CYCLE_1) | instskip(NEXT) | instid1(SALU_CYCLE_1)
	s_add_nc_u64 s[18:19], s[20:21], s[18:19]
	s_add_co_u32 s4, s4, s18
	s_cselect_b32 s2, -1, 0
	s_delay_alu instid0(SALU_CYCLE_1) | instskip(SKIP_1) | instid1(SALU_CYCLE_1)
	s_cmp_lg_u32 s2, 0
	s_add_co_ci_u32 s5, s5, s19
	s_mul_u64 s[16:17], s[16:17], s[4:5]
	s_delay_alu instid0(SALU_CYCLE_1)
	s_mul_hi_u32 s19, s4, s17
	s_mul_i32 s18, s4, s17
	s_mul_hi_u32 s20, s4, s16
	s_mul_i32 s22, s5, s16
	s_add_nc_u64 s[18:19], s[20:21], s[18:19]
	s_mul_hi_u32 s2, s5, s16
	s_mul_hi_u32 s23, s5, s17
	s_mul_i32 s16, s5, s17
	s_add_co_u32 s17, s18, s22
	s_add_co_ci_u32 s20, s19, s2
	s_add_co_ci_u32 s17, s23, 0
	s_delay_alu instid0(SALU_CYCLE_1) | instskip(NEXT) | instid1(SALU_CYCLE_1)
	s_add_nc_u64 s[16:17], s[20:21], s[16:17]
	s_add_co_u32 s2, s4, s16
	s_cselect_b32 s4, -1, 0
	s_delay_alu instid0(SALU_CYCLE_1)
	s_cmp_lg_u32 s4, 0
	s_add_co_ci_u32 s20, s5, s17
	s_mov_b64 s[4:5], 0xffffffff
	v_mul_u64_e32 v[4:5], s[20:21], v[2:3]
	v_mul_hi_u32 v2, v0, s2
	s_and_b64 s[4:5], s[2:3], s[4:5]
	s_delay_alu instid0(VALU_DEP_1) | instskip(SKIP_1) | instid1(VALU_DEP_1)
	v_add_nc_u64_e32 v[4:5], v[2:3], v[4:5]
	v_mov_b32_e32 v2, v1
	v_mul_u64_e32 v[6:7], s[4:5], v[2:3]
	v_mul_u64_e32 v[8:9], s[20:21], v[2:3]
	s_delay_alu instid0(VALU_DEP_2) | instskip(NEXT) | instid1(VALU_DEP_3)
	v_add_co_u32 v2, vcc_lo, v4, v6
	v_add_co_ci_u32_e32 v2, vcc_lo, v5, v7, vcc_lo
	s_delay_alu instid0(VALU_DEP_3) | instskip(NEXT) | instid1(VALU_DEP_1)
	v_add_co_ci_u32_e32 v9, vcc_lo, 0, v9, vcc_lo
	v_add_nc_u64_e32 v[2:3], v[2:3], v[8:9]
	s_delay_alu instid0(VALU_DEP_1) | instskip(NEXT) | instid1(VALU_DEP_1)
	v_mul_u64_e32 v[4:5], s[14:15], v[2:3]
	v_sub_nc_u32_e32 v6, v1, v5
	s_delay_alu instid0(VALU_DEP_2) | instskip(NEXT) | instid1(VALU_DEP_1)
	v_sub_co_u32 v4, vcc_lo, v0, v4
	v_sub_co_ci_u32_e64 v11, null, v1, v5, vcc_lo
	s_delay_alu instid0(VALU_DEP_3) | instskip(NEXT) | instid1(VALU_DEP_3)
	v_subrev_co_ci_u32_e64 v6, null, s15, v6, vcc_lo
	v_sub_co_u32 v8, s2, v4, s14
	v_cmp_le_u32_e32 vcc_lo, s14, v4
	s_delay_alu instid0(VALU_DEP_3) | instskip(NEXT) | instid1(VALU_DEP_3)
	v_subrev_co_ci_u32_e64 v9, null, 0, v6, s2
	v_cmp_le_u32_e64 s2, s14, v8
	v_add_nc_u64_e32 v[6:7], 2, v[2:3]
	v_cndmask_b32_e64 v12, 0, -1, vcc_lo
	s_delay_alu instid0(VALU_DEP_4) | instskip(SKIP_3) | instid1(VALU_DEP_1)
	v_cmp_eq_u32_e32 vcc_lo, s15, v9
	v_add_nc_u64_e32 v[4:5], 1, v[2:3]
	v_cndmask_b32_e64 v8, 0, -1, s2
	v_cmp_le_u32_e64 s2, s15, v9
	v_cndmask_b32_e64 v10, 0, -1, s2
	v_cmp_eq_u32_e64 s2, s15, v11
	s_delay_alu instid0(VALU_DEP_2) | instskip(SKIP_2) | instid1(VALU_DEP_3)
	v_cndmask_b32_e32 v8, v10, v8, vcc_lo
	v_cmp_le_u32_e32 vcc_lo, s15, v11
	v_cndmask_b32_e64 v9, 0, -1, vcc_lo
	v_cmp_ne_u32_e32 vcc_lo, 0, v8
	s_delay_alu instid0(VALU_DEP_2) | instskip(SKIP_1) | instid1(VALU_DEP_2)
	v_dual_cndmask_b32 v8, v9, v12, s2 :: v_dual_cndmask_b32 v4, v4, v6, vcc_lo
	v_cndmask_b32_e32 v5, v5, v7, vcc_lo
	v_cmp_ne_u32_e32 vcc_lo, 0, v8
	s_delay_alu instid0(VALU_DEP_2)
	v_dual_cndmask_b32 v3, v3, v5 :: v_dual_cndmask_b32 v2, v2, v4
.LBB0_3:
	s_and_not1_saveexec_b32 s2, s3
	s_cbranch_execz .LBB0_5
; %bb.4:
	v_cvt_f32_u32_e32 v2, s14
	s_sub_co_i32 s3, 0, s14
	s_delay_alu instid0(VALU_DEP_1) | instskip(SKIP_1) | instid1(TRANS32_DEP_1)
	v_rcp_iflag_f32_e32 v2, v2
	v_nop
	v_mul_f32_e32 v2, 0x4f7ffffe, v2
	s_delay_alu instid0(VALU_DEP_1) | instskip(NEXT) | instid1(VALU_DEP_1)
	v_cvt_u32_f32_e32 v2, v2
	v_mul_lo_u32 v3, s3, v2
	s_delay_alu instid0(VALU_DEP_1) | instskip(NEXT) | instid1(VALU_DEP_1)
	v_mul_hi_u32 v3, v2, v3
	v_add_nc_u32_e32 v2, v2, v3
	s_delay_alu instid0(VALU_DEP_1) | instskip(NEXT) | instid1(VALU_DEP_1)
	v_mul_hi_u32 v2, v0, v2
	v_mul_lo_u32 v3, v2, s14
	s_delay_alu instid0(VALU_DEP_1) | instskip(NEXT) | instid1(VALU_DEP_1)
	v_dual_add_nc_u32 v4, 1, v2 :: v_dual_sub_nc_u32 v3, v0, v3
	v_subrev_nc_u32_e32 v5, s14, v3
	v_cmp_le_u32_e32 vcc_lo, s14, v3
	s_delay_alu instid0(VALU_DEP_2) | instskip(NEXT) | instid1(VALU_DEP_1)
	v_dual_cndmask_b32 v3, v3, v5 :: v_dual_cndmask_b32 v2, v2, v4
	v_cmp_le_u32_e32 vcc_lo, s14, v3
	s_delay_alu instid0(VALU_DEP_2) | instskip(NEXT) | instid1(VALU_DEP_1)
	v_dual_mov_b32 v3, 0 :: v_dual_add_nc_u32 v4, 1, v2
	v_cndmask_b32_e32 v2, v2, v4, vcc_lo
.LBB0_5:
	s_or_b32 exec_lo, exec_lo, s2
	v_dual_mov_b32 v4, 0 :: v_dual_bitop2_b32 v5, s13, v1 bitop3:0x54
                                        ; implicit-def: $vgpr6_vgpr7
	s_mov_b32 s2, exec_lo
	s_delay_alu instid0(VALU_DEP_1)
	v_cmpx_ne_u64_e32 0, v[4:5]
	s_xor_b32 s3, exec_lo, s2
	s_cbranch_execz .LBB0_7
; %bb.6:
	s_cvt_f32_u32 s2, s12
	s_cvt_f32_u32 s4, s13
	s_sub_nc_u64 s[14:15], 0, s[12:13]
	s_mov_b32 s19, 0
	v_dual_mov_b32 v6, v0 :: v_dual_mov_b32 v7, v4
	s_fmamk_f32 s2, s4, 0x4f800000, s2
	v_dual_mov_b32 v8, v1 :: v_dual_mov_b32 v9, v4
	v_dual_mov_b32 v13, v4 :: v_dual_mov_b32 v5, v4
	s_delay_alu instid0(SALU_CYCLE_1) | instskip(NEXT) | instid1(TRANS32_DEP_1)
	v_s_rcp_f32 s2, s2
	s_mul_f32 s2, s2, 0x5f7ffffc
	s_delay_alu instid0(SALU_CYCLE_3) | instskip(NEXT) | instid1(SALU_CYCLE_3)
	s_mul_f32 s4, s2, 0x2f800000
	s_trunc_f32 s4, s4
	s_delay_alu instid0(SALU_CYCLE_3) | instskip(SKIP_1) | instid1(SALU_CYCLE_2)
	s_fmamk_f32 s2, s4, 0xcf800000, s2
	s_cvt_u32_f32 s5, s4
	s_cvt_u32_f32 s4, s2
	s_delay_alu instid0(SALU_CYCLE_3) | instskip(NEXT) | instid1(SALU_CYCLE_1)
	s_mul_u64 s[16:17], s[14:15], s[4:5]
	s_mul_hi_u32 s21, s4, s17
	s_mul_i32 s20, s4, s17
	s_mul_hi_u32 s18, s4, s16
	s_mul_i32 s22, s5, s16
	s_add_nc_u64 s[20:21], s[18:19], s[20:21]
	s_mul_hi_u32 s2, s5, s16
	s_mul_hi_u32 s23, s5, s17
	s_mul_i32 s16, s5, s17
	s_add_co_u32 s17, s20, s22
	s_add_co_ci_u32 s18, s21, s2
	s_add_co_ci_u32 s17, s23, 0
	s_delay_alu instid0(SALU_CYCLE_1) | instskip(NEXT) | instid1(SALU_CYCLE_1)
	s_add_nc_u64 s[16:17], s[18:19], s[16:17]
	s_add_co_u32 s4, s4, s16
	s_cselect_b32 s2, -1, 0
	s_delay_alu instid0(SALU_CYCLE_1) | instskip(SKIP_1) | instid1(SALU_CYCLE_1)
	s_cmp_lg_u32 s2, 0
	s_add_co_ci_u32 s5, s5, s17
	s_mul_u64 s[14:15], s[14:15], s[4:5]
	s_delay_alu instid0(SALU_CYCLE_1)
	s_mul_hi_u32 s17, s4, s15
	s_mul_i32 s16, s4, s15
	s_mul_hi_u32 s18, s4, s14
	s_mul_i32 s20, s5, s14
	s_add_nc_u64 s[16:17], s[18:19], s[16:17]
	s_mul_hi_u32 s2, s5, s14
	s_mul_hi_u32 s21, s5, s15
	s_mul_i32 s14, s5, s15
	s_add_co_u32 s15, s16, s20
	s_add_co_ci_u32 s18, s17, s2
	s_add_co_ci_u32 s15, s21, 0
	s_delay_alu instid0(SALU_CYCLE_1) | instskip(NEXT) | instid1(SALU_CYCLE_1)
	s_add_nc_u64 s[14:15], s[18:19], s[14:15]
	s_add_co_u32 s2, s4, s14
	s_cselect_b32 s4, -1, 0
	v_nop
	v_mul_hi_u32 v12, v0, s2
	s_cmp_lg_u32 s4, 0
	s_add_co_ci_u32 s18, s5, s15
	s_mov_b64 s[4:5], 0xffffffff
	v_mul_u64_e32 v[6:7], s[18:19], v[6:7]
	s_and_b64 s[4:5], s[2:3], s[4:5]
	s_delay_alu instid0(SALU_CYCLE_1) | instskip(SKIP_1) | instid1(VALU_DEP_3)
	v_mul_u64_e32 v[10:11], s[4:5], v[8:9]
	v_mul_u64_e32 v[8:9], s[18:19], v[8:9]
	v_add_nc_u64_e32 v[6:7], v[12:13], v[6:7]
	s_delay_alu instid0(VALU_DEP_1) | instskip(NEXT) | instid1(VALU_DEP_2)
	v_add_co_u32 v4, vcc_lo, v6, v10
	v_add_co_ci_u32_e32 v4, vcc_lo, v7, v11, vcc_lo
	s_delay_alu instid0(VALU_DEP_4) | instskip(NEXT) | instid1(VALU_DEP_1)
	v_add_co_ci_u32_e32 v9, vcc_lo, 0, v9, vcc_lo
	v_add_nc_u64_e32 v[4:5], v[4:5], v[8:9]
	s_delay_alu instid0(VALU_DEP_1) | instskip(NEXT) | instid1(VALU_DEP_1)
	v_mul_u64_e32 v[6:7], s[12:13], v[4:5]
	v_sub_nc_u32_e32 v8, v1, v7
	s_delay_alu instid0(VALU_DEP_2) | instskip(NEXT) | instid1(VALU_DEP_1)
	v_sub_co_u32 v6, vcc_lo, v0, v6
	v_sub_co_ci_u32_e64 v13, null, v1, v7, vcc_lo
	s_delay_alu instid0(VALU_DEP_3) | instskip(NEXT) | instid1(VALU_DEP_3)
	v_subrev_co_ci_u32_e64 v8, null, s13, v8, vcc_lo
	v_sub_co_u32 v10, s2, v6, s12
	v_cmp_le_u32_e32 vcc_lo, s12, v6
	s_delay_alu instid0(VALU_DEP_3) | instskip(NEXT) | instid1(VALU_DEP_3)
	v_subrev_co_ci_u32_e64 v11, null, 0, v8, s2
	v_cmp_le_u32_e64 s2, s12, v10
	v_add_nc_u64_e32 v[8:9], 2, v[4:5]
	v_cndmask_b32_e64 v14, 0, -1, vcc_lo
	s_delay_alu instid0(VALU_DEP_4) | instskip(SKIP_3) | instid1(VALU_DEP_1)
	v_cmp_eq_u32_e32 vcc_lo, s13, v11
	v_add_nc_u64_e32 v[6:7], 1, v[4:5]
	v_cndmask_b32_e64 v10, 0, -1, s2
	v_cmp_le_u32_e64 s2, s13, v11
	v_cndmask_b32_e64 v12, 0, -1, s2
	v_cmp_eq_u32_e64 s2, s13, v13
	s_delay_alu instid0(VALU_DEP_2) | instskip(SKIP_2) | instid1(VALU_DEP_3)
	v_cndmask_b32_e32 v10, v12, v10, vcc_lo
	v_cmp_le_u32_e32 vcc_lo, s13, v13
	v_cndmask_b32_e64 v11, 0, -1, vcc_lo
	v_cmp_ne_u32_e32 vcc_lo, 0, v10
	s_delay_alu instid0(VALU_DEP_2) | instskip(SKIP_1) | instid1(VALU_DEP_2)
	v_dual_cndmask_b32 v10, v11, v14, s2 :: v_dual_cndmask_b32 v6, v6, v8, vcc_lo
	v_cndmask_b32_e32 v7, v7, v9, vcc_lo
	v_cmp_ne_u32_e32 vcc_lo, 0, v10
	s_delay_alu instid0(VALU_DEP_2)
	v_dual_cndmask_b32 v6, v4, v6 :: v_dual_cndmask_b32 v7, v5, v7
.LBB0_7:
	s_and_not1_saveexec_b32 s2, s3
	s_cbranch_execz .LBB0_9
; %bb.8:
	v_cvt_f32_u32_e32 v4, s12
	s_sub_co_i32 s3, 0, s12
	s_delay_alu instid0(VALU_DEP_1) | instskip(SKIP_1) | instid1(TRANS32_DEP_1)
	v_rcp_iflag_f32_e32 v4, v4
	v_nop
	v_mul_f32_e32 v4, 0x4f7ffffe, v4
	s_delay_alu instid0(VALU_DEP_1) | instskip(NEXT) | instid1(VALU_DEP_1)
	v_cvt_u32_f32_e32 v4, v4
	v_mul_lo_u32 v5, s3, v4
	s_delay_alu instid0(VALU_DEP_1) | instskip(NEXT) | instid1(VALU_DEP_1)
	v_mul_hi_u32 v5, v4, v5
	v_add_nc_u32_e32 v4, v4, v5
	s_delay_alu instid0(VALU_DEP_1) | instskip(NEXT) | instid1(VALU_DEP_1)
	v_mul_hi_u32 v4, v0, v4
	v_mul_lo_u32 v5, v4, s12
	s_delay_alu instid0(VALU_DEP_1) | instskip(NEXT) | instid1(VALU_DEP_1)
	v_dual_add_nc_u32 v6, 1, v4 :: v_dual_sub_nc_u32 v5, v0, v5
	v_subrev_nc_u32_e32 v7, s12, v5
	v_cmp_le_u32_e32 vcc_lo, s12, v5
	s_delay_alu instid0(VALU_DEP_2) | instskip(NEXT) | instid1(VALU_DEP_4)
	v_dual_cndmask_b32 v5, v5, v7, vcc_lo :: v_dual_mov_b32 v7, 0
	v_cndmask_b32_e32 v4, v4, v6, vcc_lo
	s_delay_alu instid0(VALU_DEP_2) | instskip(NEXT) | instid1(VALU_DEP_2)
	v_cmp_le_u32_e32 vcc_lo, s12, v5
	v_add_nc_u32_e32 v6, 1, v4
	s_delay_alu instid0(VALU_DEP_1)
	v_cndmask_b32_e32 v6, v4, v6, vcc_lo
.LBB0_9:
	s_or_b32 exec_lo, exec_lo, s2
	s_delay_alu instid0(VALU_DEP_1) | instskip(SKIP_1) | instid1(VALU_DEP_1)
	v_dual_mov_b32 v8, 0 :: v_dual_bitop2_b32 v9, s7, v7 bitop3:0x54
                                        ; implicit-def: $vgpr4_vgpr5
	s_mov_b32 s2, exec_lo
	v_cmpx_ne_u64_e32 0, v[8:9]
	s_xor_b32 s3, exec_lo, s2
	s_cbranch_execz .LBB0_11
; %bb.10:
	s_cvt_f32_u32 s2, s6
	s_cvt_f32_u32 s4, s7
	s_sub_nc_u64 s[14:15], 0, s[6:7]
	s_mov_b32 s19, 0
	v_dual_mov_b32 v4, v6 :: v_dual_mov_b32 v5, v8
	s_fmamk_f32 s2, s4, 0x4f800000, s2
	v_dual_mov_b32 v10, v7 :: v_dual_mov_b32 v11, v8
	v_dual_mov_b32 v15, v8 :: v_dual_mov_b32 v9, v8
	s_delay_alu instid0(SALU_CYCLE_1) | instskip(NEXT) | instid1(TRANS32_DEP_1)
	v_s_rcp_f32 s2, s2
	s_mul_f32 s2, s2, 0x5f7ffffc
	s_delay_alu instid0(SALU_CYCLE_3) | instskip(NEXT) | instid1(SALU_CYCLE_3)
	s_mul_f32 s4, s2, 0x2f800000
	s_trunc_f32 s4, s4
	s_delay_alu instid0(SALU_CYCLE_3) | instskip(SKIP_1) | instid1(SALU_CYCLE_2)
	s_fmamk_f32 s2, s4, 0xcf800000, s2
	s_cvt_u32_f32 s5, s4
	s_cvt_u32_f32 s4, s2
	s_delay_alu instid0(SALU_CYCLE_3) | instskip(NEXT) | instid1(SALU_CYCLE_1)
	s_mul_u64 s[16:17], s[14:15], s[4:5]
	s_mul_hi_u32 s21, s4, s17
	s_mul_i32 s20, s4, s17
	s_mul_hi_u32 s18, s4, s16
	s_mul_i32 s22, s5, s16
	s_add_nc_u64 s[20:21], s[18:19], s[20:21]
	s_mul_hi_u32 s2, s5, s16
	s_mul_hi_u32 s23, s5, s17
	s_mul_i32 s16, s5, s17
	s_add_co_u32 s17, s20, s22
	s_add_co_ci_u32 s18, s21, s2
	s_add_co_ci_u32 s17, s23, 0
	s_delay_alu instid0(SALU_CYCLE_1) | instskip(NEXT) | instid1(SALU_CYCLE_1)
	s_add_nc_u64 s[16:17], s[18:19], s[16:17]
	s_add_co_u32 s4, s4, s16
	s_cselect_b32 s2, -1, 0
	s_delay_alu instid0(SALU_CYCLE_1) | instskip(SKIP_1) | instid1(SALU_CYCLE_1)
	s_cmp_lg_u32 s2, 0
	s_add_co_ci_u32 s5, s5, s17
	s_mul_u64 s[14:15], s[14:15], s[4:5]
	s_delay_alu instid0(SALU_CYCLE_1)
	s_mul_hi_u32 s17, s4, s15
	s_mul_i32 s16, s4, s15
	s_mul_hi_u32 s18, s4, s14
	s_mul_i32 s20, s5, s14
	s_add_nc_u64 s[16:17], s[18:19], s[16:17]
	s_mul_hi_u32 s2, s5, s14
	s_mul_hi_u32 s21, s5, s15
	s_mul_i32 s14, s5, s15
	s_add_co_u32 s15, s16, s20
	s_add_co_ci_u32 s18, s17, s2
	s_add_co_ci_u32 s15, s21, 0
	s_delay_alu instid0(SALU_CYCLE_1) | instskip(NEXT) | instid1(SALU_CYCLE_1)
	s_add_nc_u64 s[14:15], s[18:19], s[14:15]
	s_add_co_u32 s2, s4, s14
	s_cselect_b32 s4, -1, 0
	v_nop
	v_mul_hi_u32 v14, v6, s2
	s_cmp_lg_u32 s4, 0
	s_add_co_ci_u32 s18, s5, s15
	s_mov_b64 s[4:5], 0xffffffff
	v_mul_u64_e32 v[4:5], s[18:19], v[4:5]
	s_and_b64 s[4:5], s[2:3], s[4:5]
	s_delay_alu instid0(SALU_CYCLE_1) | instskip(SKIP_1) | instid1(VALU_DEP_3)
	v_mul_u64_e32 v[12:13], s[4:5], v[10:11]
	v_mul_u64_e32 v[10:11], s[18:19], v[10:11]
	v_add_nc_u64_e32 v[4:5], v[14:15], v[4:5]
	s_delay_alu instid0(VALU_DEP_1) | instskip(NEXT) | instid1(VALU_DEP_2)
	v_add_co_u32 v4, vcc_lo, v4, v12
	v_add_co_ci_u32_e32 v8, vcc_lo, v5, v13, vcc_lo
	s_delay_alu instid0(VALU_DEP_4) | instskip(NEXT) | instid1(VALU_DEP_1)
	v_add_co_ci_u32_e32 v11, vcc_lo, 0, v11, vcc_lo
	v_add_nc_u64_e32 v[4:5], v[8:9], v[10:11]
	s_delay_alu instid0(VALU_DEP_1) | instskip(NEXT) | instid1(VALU_DEP_1)
	v_mul_u64_e32 v[4:5], s[6:7], v[4:5]
	v_sub_nc_u32_e32 v8, v7, v5
	s_delay_alu instid0(VALU_DEP_2) | instskip(NEXT) | instid1(VALU_DEP_1)
	v_sub_co_u32 v4, vcc_lo, v6, v4
	v_sub_co_ci_u32_e64 v5, null, v7, v5, vcc_lo
	s_delay_alu instid0(VALU_DEP_3) | instskip(NEXT) | instid1(VALU_DEP_3)
	v_subrev_co_ci_u32_e64 v6, null, s7, v8, vcc_lo
	v_sub_co_u32 v7, vcc_lo, v4, s6
	v_cmp_le_u32_e64 s2, s6, v4
	s_delay_alu instid0(VALU_DEP_3) | instskip(SKIP_1) | instid1(VALU_DEP_3)
	v_subrev_co_ci_u32_e64 v8, null, 0, v6, vcc_lo
	v_subrev_co_ci_u32_e64 v6, null, s7, v6, vcc_lo
	v_cndmask_b32_e64 v9, 0, -1, s2
	v_cmp_le_u32_e64 s2, s6, v7
	v_cmp_le_u32_e32 vcc_lo, s7, v5
	s_delay_alu instid0(VALU_DEP_2) | instskip(SKIP_3) | instid1(VALU_DEP_3)
	v_cndmask_b32_e64 v10, 0, -1, s2
	v_cmp_le_u32_e64 s2, s7, v8
	v_cndmask_b32_e64 v12, 0, -1, vcc_lo
	v_cmp_eq_u32_e32 vcc_lo, s7, v8
	v_cndmask_b32_e64 v11, 0, -1, s2
	v_cmp_eq_u32_e64 s2, s7, v5
	s_delay_alu instid0(VALU_DEP_1) | instskip(SKIP_1) | instid1(VALU_DEP_1)
	v_dual_cndmask_b32 v10, v11, v10, vcc_lo :: v_dual_cndmask_b32 v9, v12, v9, s2
	v_sub_co_u32 v11, vcc_lo, v7, s6
	v_subrev_co_ci_u32_e64 v6, null, 0, v6, vcc_lo
	s_delay_alu instid0(VALU_DEP_3) | instskip(NEXT) | instid1(VALU_DEP_2)
	v_cmp_ne_u32_e32 vcc_lo, 0, v10
	v_dual_cndmask_b32 v6, v8, v6 :: v_dual_cndmask_b32 v7, v7, v11
	v_cmp_ne_u32_e32 vcc_lo, 0, v9
	s_delay_alu instid0(VALU_DEP_2)
	v_dual_cndmask_b32 v5, v5, v6 :: v_dual_cndmask_b32 v4, v4, v7
                                        ; implicit-def: $vgpr6_vgpr7
.LBB0_11:
	s_and_not1_saveexec_b32 s2, s3
	s_cbranch_execz .LBB0_13
; %bb.12:
	v_cvt_f32_u32_e32 v4, s6
	s_sub_co_i32 s3, 0, s6
	s_delay_alu instid0(VALU_DEP_1) | instskip(SKIP_1) | instid1(TRANS32_DEP_1)
	v_rcp_iflag_f32_e32 v4, v4
	v_nop
	v_mul_f32_e32 v4, 0x4f7ffffe, v4
	s_delay_alu instid0(VALU_DEP_1) | instskip(NEXT) | instid1(VALU_DEP_1)
	v_cvt_u32_f32_e32 v4, v4
	v_mul_lo_u32 v5, s3, v4
	s_delay_alu instid0(VALU_DEP_1) | instskip(NEXT) | instid1(VALU_DEP_1)
	v_mul_hi_u32 v5, v4, v5
	v_add_nc_u32_e32 v4, v4, v5
	s_delay_alu instid0(VALU_DEP_1) | instskip(NEXT) | instid1(VALU_DEP_1)
	v_mul_hi_u32 v4, v6, v4
	v_mul_lo_u32 v4, v4, s6
	s_delay_alu instid0(VALU_DEP_1) | instskip(NEXT) | instid1(VALU_DEP_1)
	v_sub_nc_u32_e32 v4, v6, v4
	v_subrev_nc_u32_e32 v5, s6, v4
	v_cmp_le_u32_e32 vcc_lo, s6, v4
	s_delay_alu instid0(VALU_DEP_2) | instskip(NEXT) | instid1(VALU_DEP_1)
	v_cndmask_b32_e32 v4, v4, v5, vcc_lo
	v_subrev_nc_u32_e32 v5, s6, v4
	v_cmp_le_u32_e32 vcc_lo, s6, v4
	s_delay_alu instid0(VALU_DEP_2)
	v_dual_cndmask_b32 v4, v4, v5 :: v_dual_mov_b32 v5, 0
.LBB0_13:
	s_or_b32 exec_lo, exec_lo, s2
	v_dual_mov_b32 v8, 0 :: v_dual_bitop2_b32 v9, s11, v1 bitop3:0x54
                                        ; implicit-def: $vgpr6_vgpr7
	s_mov_b32 s2, exec_lo
	s_delay_alu instid0(VALU_DEP_1)
	v_cmpx_ne_u64_e32 0, v[8:9]
	s_xor_b32 s3, exec_lo, s2
	s_cbranch_execz .LBB0_15
; %bb.14:
	s_cvt_f32_u32 s2, s10
	s_cvt_f32_u32 s4, s11
	s_sub_nc_u64 s[14:15], 0, s[10:11]
	s_mov_b32 s19, 0
	v_dual_mov_b32 v6, v0 :: v_dual_mov_b32 v7, v8
	s_fmamk_f32 s2, s4, 0x4f800000, s2
	v_dual_mov_b32 v10, v1 :: v_dual_mov_b32 v11, v8
	v_dual_mov_b32 v15, v8 :: v_dual_mov_b32 v9, v8
	s_delay_alu instid0(SALU_CYCLE_1) | instskip(NEXT) | instid1(TRANS32_DEP_1)
	v_s_rcp_f32 s2, s2
	s_mul_f32 s2, s2, 0x5f7ffffc
	s_delay_alu instid0(SALU_CYCLE_3) | instskip(NEXT) | instid1(SALU_CYCLE_3)
	s_mul_f32 s4, s2, 0x2f800000
	s_trunc_f32 s4, s4
	s_delay_alu instid0(SALU_CYCLE_3) | instskip(SKIP_1) | instid1(SALU_CYCLE_2)
	s_fmamk_f32 s2, s4, 0xcf800000, s2
	s_cvt_u32_f32 s5, s4
	s_cvt_u32_f32 s4, s2
	s_delay_alu instid0(SALU_CYCLE_3) | instskip(NEXT) | instid1(SALU_CYCLE_1)
	s_mul_u64 s[16:17], s[14:15], s[4:5]
	s_mul_hi_u32 s21, s4, s17
	s_mul_i32 s20, s4, s17
	s_mul_hi_u32 s18, s4, s16
	s_mul_i32 s22, s5, s16
	s_add_nc_u64 s[20:21], s[18:19], s[20:21]
	s_mul_hi_u32 s2, s5, s16
	s_mul_hi_u32 s23, s5, s17
	s_mul_i32 s16, s5, s17
	s_add_co_u32 s17, s20, s22
	s_add_co_ci_u32 s18, s21, s2
	s_add_co_ci_u32 s17, s23, 0
	s_delay_alu instid0(SALU_CYCLE_1) | instskip(NEXT) | instid1(SALU_CYCLE_1)
	s_add_nc_u64 s[16:17], s[18:19], s[16:17]
	s_add_co_u32 s4, s4, s16
	s_cselect_b32 s2, -1, 0
	s_delay_alu instid0(SALU_CYCLE_1) | instskip(SKIP_1) | instid1(SALU_CYCLE_1)
	s_cmp_lg_u32 s2, 0
	s_add_co_ci_u32 s5, s5, s17
	s_mul_u64 s[14:15], s[14:15], s[4:5]
	s_delay_alu instid0(SALU_CYCLE_1)
	s_mul_hi_u32 s17, s4, s15
	s_mul_i32 s16, s4, s15
	s_mul_hi_u32 s18, s4, s14
	s_mul_i32 s20, s5, s14
	s_add_nc_u64 s[16:17], s[18:19], s[16:17]
	s_mul_hi_u32 s2, s5, s14
	s_mul_hi_u32 s21, s5, s15
	s_mul_i32 s14, s5, s15
	s_add_co_u32 s15, s16, s20
	s_add_co_ci_u32 s18, s17, s2
	s_add_co_ci_u32 s15, s21, 0
	s_delay_alu instid0(SALU_CYCLE_1) | instskip(NEXT) | instid1(SALU_CYCLE_1)
	s_add_nc_u64 s[14:15], s[18:19], s[14:15]
	s_add_co_u32 s2, s4, s14
	s_cselect_b32 s4, -1, 0
	v_nop
	v_mul_hi_u32 v14, v0, s2
	s_cmp_lg_u32 s4, 0
	s_add_co_ci_u32 s18, s5, s15
	s_mov_b64 s[4:5], 0xffffffff
	v_mul_u64_e32 v[6:7], s[18:19], v[6:7]
	s_and_b64 s[4:5], s[2:3], s[4:5]
	s_delay_alu instid0(SALU_CYCLE_1) | instskip(SKIP_1) | instid1(VALU_DEP_3)
	v_mul_u64_e32 v[12:13], s[4:5], v[10:11]
	v_mul_u64_e32 v[10:11], s[18:19], v[10:11]
	v_add_nc_u64_e32 v[6:7], v[14:15], v[6:7]
	s_delay_alu instid0(VALU_DEP_1) | instskip(NEXT) | instid1(VALU_DEP_2)
	v_add_co_u32 v6, vcc_lo, v6, v12
	v_add_co_ci_u32_e32 v8, vcc_lo, v7, v13, vcc_lo
	s_delay_alu instid0(VALU_DEP_4) | instskip(NEXT) | instid1(VALU_DEP_1)
	v_add_co_ci_u32_e32 v11, vcc_lo, 0, v11, vcc_lo
	v_add_nc_u64_e32 v[6:7], v[8:9], v[10:11]
	s_delay_alu instid0(VALU_DEP_1) | instskip(NEXT) | instid1(VALU_DEP_1)
	v_mul_u64_e32 v[8:9], s[10:11], v[6:7]
	v_sub_nc_u32_e32 v10, v1, v9
	s_delay_alu instid0(VALU_DEP_2) | instskip(NEXT) | instid1(VALU_DEP_1)
	v_sub_co_u32 v8, vcc_lo, v0, v8
	v_sub_co_ci_u32_e64 v15, null, v1, v9, vcc_lo
	s_delay_alu instid0(VALU_DEP_3) | instskip(NEXT) | instid1(VALU_DEP_3)
	v_subrev_co_ci_u32_e64 v10, null, s11, v10, vcc_lo
	v_sub_co_u32 v12, s2, v8, s10
	v_cmp_le_u32_e32 vcc_lo, s10, v8
	s_delay_alu instid0(VALU_DEP_3) | instskip(NEXT) | instid1(VALU_DEP_3)
	v_subrev_co_ci_u32_e64 v13, null, 0, v10, s2
	v_cmp_le_u32_e64 s2, s10, v12
	v_add_nc_u64_e32 v[10:11], 2, v[6:7]
	v_cndmask_b32_e64 v16, 0, -1, vcc_lo
	s_delay_alu instid0(VALU_DEP_4) | instskip(SKIP_3) | instid1(VALU_DEP_1)
	v_cmp_eq_u32_e32 vcc_lo, s11, v13
	v_add_nc_u64_e32 v[8:9], 1, v[6:7]
	v_cndmask_b32_e64 v12, 0, -1, s2
	v_cmp_le_u32_e64 s2, s11, v13
	v_cndmask_b32_e64 v14, 0, -1, s2
	v_cmp_eq_u32_e64 s2, s11, v15
	s_delay_alu instid0(VALU_DEP_2) | instskip(SKIP_2) | instid1(VALU_DEP_3)
	v_cndmask_b32_e32 v12, v14, v12, vcc_lo
	v_cmp_le_u32_e32 vcc_lo, s11, v15
	v_cndmask_b32_e64 v13, 0, -1, vcc_lo
	v_cmp_ne_u32_e32 vcc_lo, 0, v12
	s_delay_alu instid0(VALU_DEP_2) | instskip(SKIP_1) | instid1(VALU_DEP_2)
	v_dual_cndmask_b32 v12, v13, v16, s2 :: v_dual_cndmask_b32 v8, v8, v10, vcc_lo
	v_cndmask_b32_e32 v9, v9, v11, vcc_lo
	v_cmp_ne_u32_e32 vcc_lo, 0, v12
	s_delay_alu instid0(VALU_DEP_2)
	v_dual_cndmask_b32 v6, v6, v8 :: v_dual_cndmask_b32 v7, v7, v9
.LBB0_15:
	s_and_not1_saveexec_b32 s2, s3
	s_cbranch_execz .LBB0_17
; %bb.16:
	v_cvt_f32_u32_e32 v6, s10
	s_sub_co_i32 s3, 0, s10
	s_delay_alu instid0(VALU_DEP_1) | instskip(SKIP_1) | instid1(TRANS32_DEP_1)
	v_rcp_iflag_f32_e32 v6, v6
	v_nop
	v_mul_f32_e32 v6, 0x4f7ffffe, v6
	s_delay_alu instid0(VALU_DEP_1) | instskip(NEXT) | instid1(VALU_DEP_1)
	v_cvt_u32_f32_e32 v6, v6
	v_mul_lo_u32 v7, s3, v6
	s_delay_alu instid0(VALU_DEP_1) | instskip(NEXT) | instid1(VALU_DEP_1)
	v_mul_hi_u32 v7, v6, v7
	v_add_nc_u32_e32 v6, v6, v7
	s_delay_alu instid0(VALU_DEP_1) | instskip(NEXT) | instid1(VALU_DEP_1)
	v_mul_hi_u32 v6, v0, v6
	v_mul_lo_u32 v7, v6, s10
	s_delay_alu instid0(VALU_DEP_1) | instskip(NEXT) | instid1(VALU_DEP_1)
	v_dual_add_nc_u32 v8, 1, v6 :: v_dual_sub_nc_u32 v7, v0, v7
	v_subrev_nc_u32_e32 v9, s10, v7
	v_cmp_le_u32_e32 vcc_lo, s10, v7
	s_delay_alu instid0(VALU_DEP_2) | instskip(NEXT) | instid1(VALU_DEP_1)
	v_dual_cndmask_b32 v7, v7, v9 :: v_dual_cndmask_b32 v6, v6, v8
	v_cmp_le_u32_e32 vcc_lo, s10, v7
	s_delay_alu instid0(VALU_DEP_2) | instskip(NEXT) | instid1(VALU_DEP_1)
	v_dual_mov_b32 v7, 0 :: v_dual_add_nc_u32 v8, 1, v6
	v_cndmask_b32_e32 v6, v6, v8, vcc_lo
.LBB0_17:
	s_or_b32 exec_lo, exec_lo, s2
	s_delay_alu instid0(VALU_DEP_1) | instskip(SKIP_1) | instid1(VALU_DEP_1)
	v_dual_mov_b32 v8, 0 :: v_dual_bitop2_b32 v9, s9, v7 bitop3:0x54
                                        ; implicit-def: $vgpr10_vgpr11
	s_mov_b32 s2, exec_lo
	v_cmpx_ne_u64_e32 0, v[8:9]
	s_xor_b32 s3, exec_lo, s2
	s_cbranch_execz .LBB0_19
; %bb.18:
	s_cvt_f32_u32 s2, s8
	s_cvt_f32_u32 s4, s9
	s_sub_nc_u64 s[14:15], 0, s[8:9]
	s_mov_b32 s19, 0
	v_dual_mov_b32 v10, v6 :: v_dual_mov_b32 v11, v8
	s_fmamk_f32 s2, s4, 0x4f800000, s2
	v_dual_mov_b32 v12, v7 :: v_dual_mov_b32 v13, v8
	v_dual_mov_b32 v17, v8 :: v_dual_mov_b32 v9, v8
	s_delay_alu instid0(SALU_CYCLE_1) | instskip(NEXT) | instid1(TRANS32_DEP_1)
	v_s_rcp_f32 s2, s2
	s_mul_f32 s2, s2, 0x5f7ffffc
	s_delay_alu instid0(SALU_CYCLE_3) | instskip(NEXT) | instid1(SALU_CYCLE_3)
	s_mul_f32 s4, s2, 0x2f800000
	s_trunc_f32 s4, s4
	s_delay_alu instid0(SALU_CYCLE_3) | instskip(SKIP_1) | instid1(SALU_CYCLE_2)
	s_fmamk_f32 s2, s4, 0xcf800000, s2
	s_cvt_u32_f32 s5, s4
	s_cvt_u32_f32 s4, s2
	s_delay_alu instid0(SALU_CYCLE_3) | instskip(NEXT) | instid1(SALU_CYCLE_1)
	s_mul_u64 s[16:17], s[14:15], s[4:5]
	s_mul_hi_u32 s21, s4, s17
	s_mul_i32 s20, s4, s17
	s_mul_hi_u32 s18, s4, s16
	s_mul_i32 s22, s5, s16
	s_add_nc_u64 s[20:21], s[18:19], s[20:21]
	s_mul_hi_u32 s2, s5, s16
	s_mul_hi_u32 s23, s5, s17
	s_mul_i32 s16, s5, s17
	s_add_co_u32 s17, s20, s22
	s_add_co_ci_u32 s18, s21, s2
	s_add_co_ci_u32 s17, s23, 0
	s_delay_alu instid0(SALU_CYCLE_1) | instskip(NEXT) | instid1(SALU_CYCLE_1)
	s_add_nc_u64 s[16:17], s[18:19], s[16:17]
	s_add_co_u32 s4, s4, s16
	s_cselect_b32 s2, -1, 0
	s_delay_alu instid0(SALU_CYCLE_1) | instskip(SKIP_1) | instid1(SALU_CYCLE_1)
	s_cmp_lg_u32 s2, 0
	s_add_co_ci_u32 s5, s5, s17
	s_mul_u64 s[14:15], s[14:15], s[4:5]
	s_delay_alu instid0(SALU_CYCLE_1)
	s_mul_hi_u32 s17, s4, s15
	s_mul_i32 s16, s4, s15
	s_mul_hi_u32 s18, s4, s14
	s_mul_i32 s20, s5, s14
	s_add_nc_u64 s[16:17], s[18:19], s[16:17]
	s_mul_hi_u32 s2, s5, s14
	s_mul_hi_u32 s21, s5, s15
	s_mul_i32 s14, s5, s15
	s_add_co_u32 s15, s16, s20
	s_add_co_ci_u32 s18, s17, s2
	s_add_co_ci_u32 s15, s21, 0
	s_delay_alu instid0(SALU_CYCLE_1) | instskip(NEXT) | instid1(SALU_CYCLE_1)
	s_add_nc_u64 s[14:15], s[18:19], s[14:15]
	s_add_co_u32 s2, s4, s14
	s_cselect_b32 s4, -1, 0
	v_nop
	v_mul_hi_u32 v16, v6, s2
	s_cmp_lg_u32 s4, 0
	s_add_co_ci_u32 s18, s5, s15
	s_mov_b64 s[4:5], 0xffffffff
	v_mul_u64_e32 v[10:11], s[18:19], v[10:11]
	s_and_b64 s[4:5], s[2:3], s[4:5]
	s_delay_alu instid0(SALU_CYCLE_1) | instskip(SKIP_1) | instid1(VALU_DEP_3)
	v_mul_u64_e32 v[14:15], s[4:5], v[12:13]
	v_mul_u64_e32 v[12:13], s[18:19], v[12:13]
	v_add_nc_u64_e32 v[10:11], v[16:17], v[10:11]
	s_delay_alu instid0(VALU_DEP_1) | instskip(NEXT) | instid1(VALU_DEP_2)
	v_add_co_u32 v8, vcc_lo, v10, v14
	v_add_co_ci_u32_e32 v8, vcc_lo, v11, v15, vcc_lo
	s_delay_alu instid0(VALU_DEP_4) | instskip(NEXT) | instid1(VALU_DEP_1)
	v_add_co_ci_u32_e32 v13, vcc_lo, 0, v13, vcc_lo
	v_add_nc_u64_e32 v[8:9], v[8:9], v[12:13]
	s_delay_alu instid0(VALU_DEP_1) | instskip(NEXT) | instid1(VALU_DEP_1)
	v_mul_u64_e32 v[8:9], s[8:9], v[8:9]
	v_sub_nc_u32_e32 v10, v7, v9
	s_delay_alu instid0(VALU_DEP_2) | instskip(NEXT) | instid1(VALU_DEP_1)
	v_sub_co_u32 v8, vcc_lo, v6, v8
	v_sub_co_ci_u32_e64 v9, null, v7, v9, vcc_lo
	s_delay_alu instid0(VALU_DEP_3) | instskip(NEXT) | instid1(VALU_DEP_3)
	v_subrev_co_ci_u32_e64 v10, null, s9, v10, vcc_lo
	v_sub_co_u32 v11, vcc_lo, v8, s8
	v_cmp_le_u32_e64 s2, s8, v8
	s_delay_alu instid0(VALU_DEP_3) | instskip(SKIP_1) | instid1(VALU_DEP_3)
	v_subrev_co_ci_u32_e64 v12, null, 0, v10, vcc_lo
	v_subrev_co_ci_u32_e64 v10, null, s9, v10, vcc_lo
	v_cndmask_b32_e64 v13, 0, -1, s2
	v_cmp_le_u32_e64 s2, s8, v11
	v_cmp_le_u32_e32 vcc_lo, s9, v9
	s_delay_alu instid0(VALU_DEP_2) | instskip(SKIP_3) | instid1(VALU_DEP_3)
	v_cndmask_b32_e64 v14, 0, -1, s2
	v_cmp_le_u32_e64 s2, s9, v12
	v_cndmask_b32_e64 v16, 0, -1, vcc_lo
	v_cmp_eq_u32_e32 vcc_lo, s9, v12
	v_cndmask_b32_e64 v15, 0, -1, s2
	v_cmp_eq_u32_e64 s2, s9, v9
	s_delay_alu instid0(VALU_DEP_1) | instskip(SKIP_1) | instid1(VALU_DEP_1)
	v_dual_cndmask_b32 v14, v15, v14, vcc_lo :: v_dual_cndmask_b32 v13, v16, v13, s2
	v_sub_co_u32 v15, vcc_lo, v11, s8
	v_subrev_co_ci_u32_e64 v10, null, 0, v10, vcc_lo
	s_delay_alu instid0(VALU_DEP_3) | instskip(NEXT) | instid1(VALU_DEP_2)
	v_cmp_ne_u32_e32 vcc_lo, 0, v14
	v_dual_cndmask_b32 v10, v12, v10, vcc_lo :: v_dual_cndmask_b32 v12, v11, v15, vcc_lo
	v_cmp_ne_u32_e32 vcc_lo, 0, v13
	s_delay_alu instid0(VALU_DEP_2)
	v_dual_cndmask_b32 v11, v9, v10 :: v_dual_cndmask_b32 v10, v8, v12
.LBB0_19:
	s_or_saveexec_b32 s4, s3
	s_load_b128 s[0:3], s[0:1], 0x0
	s_xor_b32 exec_lo, exec_lo, s4
	s_cbranch_execz .LBB0_21
; %bb.20:
	v_cvt_f32_u32_e32 v8, s8
	s_sub_co_i32 s5, 0, s8
	v_mov_b32_e32 v11, 0
	s_delay_alu instid0(VALU_DEP_2) | instskip(SKIP_1) | instid1(TRANS32_DEP_1)
	v_rcp_iflag_f32_e32 v8, v8
	v_nop
	v_mul_f32_e32 v8, 0x4f7ffffe, v8
	s_delay_alu instid0(VALU_DEP_1) | instskip(NEXT) | instid1(VALU_DEP_1)
	v_cvt_u32_f32_e32 v8, v8
	v_mul_lo_u32 v9, s5, v8
	s_delay_alu instid0(VALU_DEP_1) | instskip(NEXT) | instid1(VALU_DEP_1)
	v_mul_hi_u32 v9, v8, v9
	v_add_nc_u32_e32 v8, v8, v9
	s_delay_alu instid0(VALU_DEP_1) | instskip(NEXT) | instid1(VALU_DEP_1)
	v_mul_hi_u32 v8, v6, v8
	v_mul_lo_u32 v8, v8, s8
	s_delay_alu instid0(VALU_DEP_1) | instskip(NEXT) | instid1(VALU_DEP_1)
	v_sub_nc_u32_e32 v8, v6, v8
	v_subrev_nc_u32_e32 v9, s8, v8
	v_cmp_le_u32_e32 vcc_lo, s8, v8
	s_delay_alu instid0(VALU_DEP_2) | instskip(NEXT) | instid1(VALU_DEP_1)
	v_cndmask_b32_e32 v8, v8, v9, vcc_lo
	v_subrev_nc_u32_e32 v9, s8, v8
	v_cmp_le_u32_e32 vcc_lo, s8, v8
	s_delay_alu instid0(VALU_DEP_2)
	v_cndmask_b32_e32 v10, v8, v9, vcc_lo
.LBB0_21:
	s_or_b32 exec_lo, exec_lo, s4
	v_mad_nc_u64_u32 v[4:5], v2, s6, v[4:5]
	s_delay_alu instid0(VALU_DEP_1) | instskip(NEXT) | instid1(VALU_DEP_1)
	v_mad_u32 v3, v3, s6, v5
	v_mad_u32 v5, v2, s7, v3
	s_delay_alu instid0(VALU_DEP_1) | instskip(SKIP_3) | instid1(VALU_DEP_3)
	v_mul_u64_e32 v[2:3], s[12:13], v[4:5]
	v_mul_u64_e32 v[4:5], s[10:11], v[6:7]
	;; [unrolled: 1-line block ×3, first 2 shown]
	s_wait_kmcnt 0x0
	v_lshl_add_u64 v[8:9], v[2:3], 2, s[0:1]
	s_delay_alu instid0(VALU_DEP_3) | instskip(SKIP_1) | instid1(VALU_DEP_3)
	v_sub_nc_u64_e32 v[0:1], v[0:1], v[4:5]
	v_lshl_add_u64 v[2:3], v[2:3], 4, s[2:3]
	v_lshl_add_u64 v[4:5], v[6:7], 2, v[8:9]
	s_delay_alu instid0(VALU_DEP_2) | instskip(NEXT) | instid1(VALU_DEP_2)
	v_lshl_add_u64 v[2:3], v[6:7], 4, v[2:3]
	v_lshl_add_u64 v[4:5], v[0:1], 2, v[4:5]
	s_delay_alu instid0(VALU_DEP_2)
	v_lshl_add_u64 v[0:1], v[0:1], 3, v[2:3]
	global_load_b32 v4, v[4:5], off
	v_lshl_add_u64 v[2:3], s[10:11], 3, v[0:1]
	s_wait_loadcnt 0x0
	v_mov_b32_e32 v5, v4
	s_clause 0x1
	global_store_b64 v[0:1], v[4:5], off
	global_store_b64 v[2:3], v[4:5], off
.LBB0_22:
	s_endpgm
	.section	.rodata,"a",@progbits
	.p2align	6, 0x0
	.amdhsa_kernel _Z23upsample_forward_kernelPKfPfmmmm
		.amdhsa_group_segment_fixed_size 0
		.amdhsa_private_segment_fixed_size 0
		.amdhsa_kernarg_size 304
		.amdhsa_user_sgpr_count 2
		.amdhsa_user_sgpr_dispatch_ptr 0
		.amdhsa_user_sgpr_queue_ptr 0
		.amdhsa_user_sgpr_kernarg_segment_ptr 1
		.amdhsa_user_sgpr_dispatch_id 0
		.amdhsa_user_sgpr_kernarg_preload_length 0
		.amdhsa_user_sgpr_kernarg_preload_offset 0
		.amdhsa_user_sgpr_private_segment_size 0
		.amdhsa_wavefront_size32 1
		.amdhsa_uses_dynamic_stack 0
		.amdhsa_enable_private_segment 0
		.amdhsa_system_sgpr_workgroup_id_x 1
		.amdhsa_system_sgpr_workgroup_id_y 0
		.amdhsa_system_sgpr_workgroup_id_z 0
		.amdhsa_system_sgpr_workgroup_info 0
		.amdhsa_system_vgpr_workitem_id 0
		.amdhsa_next_free_vgpr 18
		.amdhsa_next_free_sgpr 26
		.amdhsa_named_barrier_count 0
		.amdhsa_reserve_vcc 1
		.amdhsa_float_round_mode_32 0
		.amdhsa_float_round_mode_16_64 0
		.amdhsa_float_denorm_mode_32 3
		.amdhsa_float_denorm_mode_16_64 3
		.amdhsa_fp16_overflow 0
		.amdhsa_memory_ordered 1
		.amdhsa_forward_progress 1
		.amdhsa_inst_pref_size 31
		.amdhsa_round_robin_scheduling 0
		.amdhsa_exception_fp_ieee_invalid_op 0
		.amdhsa_exception_fp_denorm_src 0
		.amdhsa_exception_fp_ieee_div_zero 0
		.amdhsa_exception_fp_ieee_overflow 0
		.amdhsa_exception_fp_ieee_underflow 0
		.amdhsa_exception_fp_ieee_inexact 0
		.amdhsa_exception_int_div_zero 0
	.end_amdhsa_kernel
	.text
.Lfunc_end0:
	.size	_Z23upsample_forward_kernelPKfPfmmmm, .Lfunc_end0-_Z23upsample_forward_kernelPKfPfmmmm
                                        ; -- End function
	.set _Z23upsample_forward_kernelPKfPfmmmm.num_vgpr, 18
	.set _Z23upsample_forward_kernelPKfPfmmmm.num_agpr, 0
	.set _Z23upsample_forward_kernelPKfPfmmmm.numbered_sgpr, 26
	.set _Z23upsample_forward_kernelPKfPfmmmm.num_named_barrier, 0
	.set _Z23upsample_forward_kernelPKfPfmmmm.private_seg_size, 0
	.set _Z23upsample_forward_kernelPKfPfmmmm.uses_vcc, 1
	.set _Z23upsample_forward_kernelPKfPfmmmm.uses_flat_scratch, 0
	.set _Z23upsample_forward_kernelPKfPfmmmm.has_dyn_sized_stack, 0
	.set _Z23upsample_forward_kernelPKfPfmmmm.has_recursion, 0
	.set _Z23upsample_forward_kernelPKfPfmmmm.has_indirect_call, 0
	.section	.AMDGPU.csdata,"",@progbits
; Kernel info:
; codeLenInByte = 3844
; TotalNumSgprs: 28
; NumVgprs: 18
; ScratchSize: 0
; MemoryBound: 0
; FloatMode: 240
; IeeeMode: 1
; LDSByteSize: 0 bytes/workgroup (compile time only)
; SGPRBlocks: 0
; VGPRBlocks: 1
; NumSGPRsForWavesPerEU: 28
; NumVGPRsForWavesPerEU: 18
; NamedBarCnt: 0
; Occupancy: 16
; WaveLimiterHint : 0
; COMPUTE_PGM_RSRC2:SCRATCH_EN: 0
; COMPUTE_PGM_RSRC2:USER_SGPR: 2
; COMPUTE_PGM_RSRC2:TRAP_HANDLER: 0
; COMPUTE_PGM_RSRC2:TGID_X_EN: 1
; COMPUTE_PGM_RSRC2:TGID_Y_EN: 0
; COMPUTE_PGM_RSRC2:TGID_Z_EN: 0
; COMPUTE_PGM_RSRC2:TIDIG_COMP_CNT: 0
	.text
	.protected	_Z24upsample_forward_kernel2PKfPfmmmm ; -- Begin function _Z24upsample_forward_kernel2PKfPfmmmm
	.globl	_Z24upsample_forward_kernel2PKfPfmmmm
	.p2align	8
	.type	_Z24upsample_forward_kernel2PKfPfmmmm,@function
_Z24upsample_forward_kernel2PKfPfmmmm:  ; @_Z24upsample_forward_kernel2PKfPfmmmm
; %bb.0:
	s_clause 0x1
	s_load_b32 s2, s[0:1], 0x3c
	s_load_b128 s[4:7], s[0:1], 0x20
	s_bfe_u32 s9, ttmp6, 0x40010
	s_bfe_u32 s12, ttmp6, 0x4000c
	s_and_b32 s3, ttmp7, 0xffff
	s_add_co_i32 s9, s9, 1
	s_add_co_i32 s12, s12, 1
	s_bfe_u32 s10, ttmp6, 0x40004
	s_and_b32 s11, ttmp6, 15
	s_mul_i32 s9, s3, s9
	s_mul_i32 s12, ttmp9, s12
	s_getreg_b32 s8, hwreg(HW_REG_IB_STS2, 6, 4)
	v_and_b32_e32 v1, 0x3ff, v0
	v_bfe_u32 v2, v0, 10, 10
	s_add_co_i32 s10, s10, s9
	s_add_co_i32 s11, s11, s12
	s_wait_kmcnt 0x0
	s_lshr_b32 s9, s2, 16
	s_and_b32 s2, s2, 0xffff
	s_cmp_eq_u32 s8, 0
	s_cselect_b32 s11, ttmp9, s11
	s_cselect_b32 s3, s3, s10
	v_mad_u32 v0, s11, s2, v1
	v_mad_u32 v2, s3, s9, v2
	v_mov_b32_e32 v1, 0
	s_mov_b32 s3, 0
	s_delay_alu instid0(VALU_DEP_1) | instskip(NEXT) | instid1(VALU_DEP_4)
	v_mov_b32_e32 v3, v1
	v_cmp_gt_u64_e32 vcc_lo, s[6:7], v[0:1]
	s_delay_alu instid0(VALU_DEP_2) | instskip(SKIP_1) | instid1(SALU_CYCLE_1)
	v_cmp_gt_u64_e64 s2, s[4:5], v[2:3]
	s_and_b32 s2, vcc_lo, s2
	s_and_saveexec_b32 s9, s2
	s_cbranch_execz .LBB1_2
; %bb.1:
	s_bfe_u32 s2, ttmp6, 0x40014
	s_lshr_b32 s9, ttmp7, 16
	s_add_co_i32 s2, s2, 1
	s_bfe_u32 s10, ttmp6, 0x40008
	s_mul_i32 s2, s9, s2
	s_delay_alu instid0(SALU_CYCLE_1) | instskip(SKIP_2) | instid1(SALU_CYCLE_1)
	s_add_co_i32 s10, s10, s2
	s_cmp_eq_u32 s8, 0
	s_cselect_b32 s2, s9, s10
	s_mul_u64 s[4:5], s[4:5], s[2:3]
	s_load_b128 s[0:3], s[0:1], 0x0
	v_add_nc_u64_e32 v[4:5], s[4:5], v[2:3]
	v_dual_mov_b32 v3, v1 :: v_dual_lshlrev_b32 v2, 1, v2
	s_delay_alu instid0(VALU_DEP_2) | instskip(SKIP_1) | instid1(VALU_DEP_1)
	v_mul_u64_e32 v[4:5], s[6:7], v[4:5]
	s_wait_kmcnt 0x0
	v_lshl_add_u64 v[4:5], v[4:5], 2, s[0:1]
	s_lshl_b64 s[0:1], s[6:7], 1
	s_delay_alu instid0(SALU_CYCLE_1) | instskip(SKIP_1) | instid1(VALU_DEP_2)
	v_mul_u64_e32 v[2:3], s[0:1], v[2:3]
	s_mul_u64 s[0:1], s[4:5], s[0:1]
	v_lshl_add_u64 v[4:5], v[0:1], 2, v[4:5]
	s_lshl_b64 s[0:1], s[0:1], 3
	s_delay_alu instid0(SALU_CYCLE_1)
	s_add_nc_u64 s[0:1], s[2:3], s[0:1]
	global_load_b32 v4, v[4:5], off
	v_lshlrev_b32_e32 v0, 1, v0
	v_lshl_add_u64 v[2:3], v[2:3], 2, s[0:1]
	s_wait_loadcnt 0x0
	v_mov_b32_e32 v5, v4
	s_delay_alu instid0(VALU_DEP_2) | instskip(NEXT) | instid1(VALU_DEP_1)
	v_lshl_add_u64 v[0:1], v[0:1], 2, v[2:3]
	v_lshl_add_u64 v[2:3], s[6:7], 3, v[0:1]
	s_clause 0x1
	global_store_b64 v[0:1], v[4:5], off
	global_store_b64 v[2:3], v[4:5], off
.LBB1_2:
	s_endpgm
	.section	.rodata,"a",@progbits
	.p2align	6, 0x0
	.amdhsa_kernel _Z24upsample_forward_kernel2PKfPfmmmm
		.amdhsa_group_segment_fixed_size 0
		.amdhsa_private_segment_fixed_size 0
		.amdhsa_kernarg_size 304
		.amdhsa_user_sgpr_count 2
		.amdhsa_user_sgpr_dispatch_ptr 0
		.amdhsa_user_sgpr_queue_ptr 0
		.amdhsa_user_sgpr_kernarg_segment_ptr 1
		.amdhsa_user_sgpr_dispatch_id 0
		.amdhsa_user_sgpr_kernarg_preload_length 0
		.amdhsa_user_sgpr_kernarg_preload_offset 0
		.amdhsa_user_sgpr_private_segment_size 0
		.amdhsa_wavefront_size32 1
		.amdhsa_uses_dynamic_stack 0
		.amdhsa_enable_private_segment 0
		.amdhsa_system_sgpr_workgroup_id_x 1
		.amdhsa_system_sgpr_workgroup_id_y 1
		.amdhsa_system_sgpr_workgroup_id_z 1
		.amdhsa_system_sgpr_workgroup_info 0
		.amdhsa_system_vgpr_workitem_id 1
		.amdhsa_next_free_vgpr 6
		.amdhsa_next_free_sgpr 13
		.amdhsa_named_barrier_count 0
		.amdhsa_reserve_vcc 1
		.amdhsa_float_round_mode_32 0
		.amdhsa_float_round_mode_16_64 0
		.amdhsa_float_denorm_mode_32 3
		.amdhsa_float_denorm_mode_16_64 3
		.amdhsa_fp16_overflow 0
		.amdhsa_memory_ordered 1
		.amdhsa_forward_progress 1
		.amdhsa_inst_pref_size 4
		.amdhsa_round_robin_scheduling 0
		.amdhsa_exception_fp_ieee_invalid_op 0
		.amdhsa_exception_fp_denorm_src 0
		.amdhsa_exception_fp_ieee_div_zero 0
		.amdhsa_exception_fp_ieee_overflow 0
		.amdhsa_exception_fp_ieee_underflow 0
		.amdhsa_exception_fp_ieee_inexact 0
		.amdhsa_exception_int_div_zero 0
	.end_amdhsa_kernel
	.text
.Lfunc_end1:
	.size	_Z24upsample_forward_kernel2PKfPfmmmm, .Lfunc_end1-_Z24upsample_forward_kernel2PKfPfmmmm
                                        ; -- End function
	.set _Z24upsample_forward_kernel2PKfPfmmmm.num_vgpr, 6
	.set _Z24upsample_forward_kernel2PKfPfmmmm.num_agpr, 0
	.set _Z24upsample_forward_kernel2PKfPfmmmm.numbered_sgpr, 13
	.set _Z24upsample_forward_kernel2PKfPfmmmm.num_named_barrier, 0
	.set _Z24upsample_forward_kernel2PKfPfmmmm.private_seg_size, 0
	.set _Z24upsample_forward_kernel2PKfPfmmmm.uses_vcc, 1
	.set _Z24upsample_forward_kernel2PKfPfmmmm.uses_flat_scratch, 0
	.set _Z24upsample_forward_kernel2PKfPfmmmm.has_dyn_sized_stack, 0
	.set _Z24upsample_forward_kernel2PKfPfmmmm.has_recursion, 0
	.set _Z24upsample_forward_kernel2PKfPfmmmm.has_indirect_call, 0
	.section	.AMDGPU.csdata,"",@progbits
; Kernel info:
; codeLenInByte = 396
; TotalNumSgprs: 15
; NumVgprs: 6
; ScratchSize: 0
; MemoryBound: 0
; FloatMode: 240
; IeeeMode: 1
; LDSByteSize: 0 bytes/workgroup (compile time only)
; SGPRBlocks: 0
; VGPRBlocks: 0
; NumSGPRsForWavesPerEU: 15
; NumVGPRsForWavesPerEU: 6
; NamedBarCnt: 0
; Occupancy: 16
; WaveLimiterHint : 0
; COMPUTE_PGM_RSRC2:SCRATCH_EN: 0
; COMPUTE_PGM_RSRC2:USER_SGPR: 2
; COMPUTE_PGM_RSRC2:TRAP_HANDLER: 0
; COMPUTE_PGM_RSRC2:TGID_X_EN: 1
; COMPUTE_PGM_RSRC2:TGID_Y_EN: 1
; COMPUTE_PGM_RSRC2:TGID_Z_EN: 1
; COMPUTE_PGM_RSRC2:TIDIG_COMP_CNT: 1
	.text
	.protected	_Z24upsample_backward_kernelPKfPfmmmm ; -- Begin function _Z24upsample_backward_kernelPKfPfmmmm
	.globl	_Z24upsample_backward_kernelPKfPfmmmm
	.p2align	8
	.type	_Z24upsample_backward_kernelPKfPfmmmm,@function
_Z24upsample_backward_kernelPKfPfmmmm:  ; @_Z24upsample_backward_kernelPKfPfmmmm
; %bb.0:
	s_clause 0x1
	s_load_b32 s2, s[0:1], 0x3c
	s_load_b256 s[4:11], s[0:1], 0x10
	s_bfe_u32 s3, ttmp6, 0x4000c
	v_mov_b32_e32 v2, 0
	s_add_co_i32 s3, s3, 1
	s_and_b32 s12, ttmp6, 15
	s_mul_i32 s3, ttmp9, s3
	s_getreg_b32 s13, hwreg(HW_REG_IB_STS2, 6, 4)
	v_mov_b32_e32 v1, v2
	s_add_co_i32 s12, s12, s3
	s_wait_kmcnt 0x0
	s_and_b32 s2, s2, 0xffff
	s_cmp_eq_u32 s13, 0
	s_cselect_b32 s3, ttmp9, s12
	s_mul_u64 s[12:13], s[10:11], s[8:9]
	v_mad_nc_u64_u32 v[0:1], s2, s3, v[0:1]
	s_mul_u64 s[14:15], s[12:13], s[6:7]
	s_delay_alu instid0(SALU_CYCLE_1)
	s_mul_u64 s[2:3], s[14:15], s[4:5]
	s_delay_alu instid0(VALU_DEP_1) | instid1(SALU_CYCLE_1)
	v_cmp_gt_u64_e32 vcc_lo, s[2:3], v[0:1]
	s_and_saveexec_b32 s2, vcc_lo
	s_cbranch_execz .LBB2_22
; %bb.1:
	v_or_b32_e32 v3, s15, v1
	s_delay_alu instid0(VALU_DEP_1) | instskip(SKIP_1) | instid1(SALU_CYCLE_1)
	v_cmp_ne_u64_e32 vcc_lo, 0, v[2:3]
                                        ; implicit-def: $vgpr2_vgpr3
	s_and_saveexec_b32 s2, vcc_lo
	s_xor_b32 s3, exec_lo, s2
	s_cbranch_execz .LBB2_3
; %bb.2:
	s_cvt_f32_u32 s2, s14
	s_cvt_f32_u32 s4, s15
	s_sub_nc_u64 s[16:17], 0, s[14:15]
	s_mov_b32 s21, 0
	v_dual_mov_b32 v3, 0 :: v_dual_mov_b32 v2, v0
	s_fmamk_f32 s2, s4, 0x4f800000, s2
	s_delay_alu instid0(SALU_CYCLE_3) | instskip(NEXT) | instid1(TRANS32_DEP_1)
	v_s_rcp_f32 s2, s2
	s_mul_f32 s2, s2, 0x5f7ffffc
	s_delay_alu instid0(SALU_CYCLE_3) | instskip(NEXT) | instid1(SALU_CYCLE_3)
	s_mul_f32 s4, s2, 0x2f800000
	s_trunc_f32 s4, s4
	s_delay_alu instid0(SALU_CYCLE_3) | instskip(SKIP_1) | instid1(SALU_CYCLE_2)
	s_fmamk_f32 s2, s4, 0xcf800000, s2
	s_cvt_u32_f32 s5, s4
	s_cvt_u32_f32 s4, s2
	s_delay_alu instid0(SALU_CYCLE_3) | instskip(NEXT) | instid1(SALU_CYCLE_1)
	s_mul_u64 s[18:19], s[16:17], s[4:5]
	s_mul_hi_u32 s23, s4, s19
	s_mul_i32 s22, s4, s19
	s_mul_hi_u32 s20, s4, s18
	s_mul_i32 s24, s5, s18
	s_add_nc_u64 s[22:23], s[20:21], s[22:23]
	s_mul_hi_u32 s2, s5, s18
	s_mul_hi_u32 s25, s5, s19
	s_mul_i32 s18, s5, s19
	s_add_co_u32 s19, s22, s24
	s_add_co_ci_u32 s20, s23, s2
	s_add_co_ci_u32 s19, s25, 0
	s_delay_alu instid0(SALU_CYCLE_1) | instskip(NEXT) | instid1(SALU_CYCLE_1)
	s_add_nc_u64 s[18:19], s[20:21], s[18:19]
	s_add_co_u32 s4, s4, s18
	s_cselect_b32 s2, -1, 0
	s_delay_alu instid0(SALU_CYCLE_1) | instskip(SKIP_1) | instid1(SALU_CYCLE_1)
	s_cmp_lg_u32 s2, 0
	s_add_co_ci_u32 s5, s5, s19
	s_mul_u64 s[16:17], s[16:17], s[4:5]
	s_delay_alu instid0(SALU_CYCLE_1)
	s_mul_hi_u32 s19, s4, s17
	s_mul_i32 s18, s4, s17
	s_mul_hi_u32 s20, s4, s16
	s_mul_i32 s22, s5, s16
	s_add_nc_u64 s[18:19], s[20:21], s[18:19]
	s_mul_hi_u32 s2, s5, s16
	s_mul_hi_u32 s23, s5, s17
	s_mul_i32 s16, s5, s17
	s_add_co_u32 s17, s18, s22
	s_add_co_ci_u32 s20, s19, s2
	s_add_co_ci_u32 s17, s23, 0
	s_delay_alu instid0(SALU_CYCLE_1) | instskip(NEXT) | instid1(SALU_CYCLE_1)
	s_add_nc_u64 s[16:17], s[20:21], s[16:17]
	s_add_co_u32 s2, s4, s16
	s_cselect_b32 s4, -1, 0
	s_delay_alu instid0(SALU_CYCLE_1)
	s_cmp_lg_u32 s4, 0
	s_add_co_ci_u32 s20, s5, s17
	s_mov_b64 s[4:5], 0xffffffff
	v_mul_u64_e32 v[4:5], s[20:21], v[2:3]
	v_mul_hi_u32 v2, v0, s2
	s_and_b64 s[4:5], s[2:3], s[4:5]
	s_delay_alu instid0(VALU_DEP_1) | instskip(SKIP_1) | instid1(VALU_DEP_1)
	v_add_nc_u64_e32 v[4:5], v[2:3], v[4:5]
	v_mov_b32_e32 v2, v1
	v_mul_u64_e32 v[6:7], s[4:5], v[2:3]
	v_mul_u64_e32 v[8:9], s[20:21], v[2:3]
	s_delay_alu instid0(VALU_DEP_2) | instskip(NEXT) | instid1(VALU_DEP_3)
	v_add_co_u32 v2, vcc_lo, v4, v6
	v_add_co_ci_u32_e32 v2, vcc_lo, v5, v7, vcc_lo
	s_delay_alu instid0(VALU_DEP_3) | instskip(NEXT) | instid1(VALU_DEP_1)
	v_add_co_ci_u32_e32 v9, vcc_lo, 0, v9, vcc_lo
	v_add_nc_u64_e32 v[2:3], v[2:3], v[8:9]
	s_delay_alu instid0(VALU_DEP_1) | instskip(NEXT) | instid1(VALU_DEP_1)
	v_mul_u64_e32 v[4:5], s[14:15], v[2:3]
	v_sub_nc_u32_e32 v6, v1, v5
	s_delay_alu instid0(VALU_DEP_2) | instskip(NEXT) | instid1(VALU_DEP_1)
	v_sub_co_u32 v4, vcc_lo, v0, v4
	v_sub_co_ci_u32_e64 v11, null, v1, v5, vcc_lo
	s_delay_alu instid0(VALU_DEP_3) | instskip(NEXT) | instid1(VALU_DEP_3)
	v_subrev_co_ci_u32_e64 v6, null, s15, v6, vcc_lo
	v_sub_co_u32 v8, s2, v4, s14
	v_cmp_le_u32_e32 vcc_lo, s14, v4
	s_delay_alu instid0(VALU_DEP_3) | instskip(NEXT) | instid1(VALU_DEP_3)
	v_subrev_co_ci_u32_e64 v9, null, 0, v6, s2
	v_cmp_le_u32_e64 s2, s14, v8
	v_add_nc_u64_e32 v[6:7], 2, v[2:3]
	v_cndmask_b32_e64 v12, 0, -1, vcc_lo
	s_delay_alu instid0(VALU_DEP_4) | instskip(SKIP_3) | instid1(VALU_DEP_1)
	v_cmp_eq_u32_e32 vcc_lo, s15, v9
	v_add_nc_u64_e32 v[4:5], 1, v[2:3]
	v_cndmask_b32_e64 v8, 0, -1, s2
	v_cmp_le_u32_e64 s2, s15, v9
	v_cndmask_b32_e64 v10, 0, -1, s2
	v_cmp_eq_u32_e64 s2, s15, v11
	s_delay_alu instid0(VALU_DEP_2) | instskip(SKIP_2) | instid1(VALU_DEP_3)
	v_cndmask_b32_e32 v8, v10, v8, vcc_lo
	v_cmp_le_u32_e32 vcc_lo, s15, v11
	v_cndmask_b32_e64 v9, 0, -1, vcc_lo
	v_cmp_ne_u32_e32 vcc_lo, 0, v8
	s_delay_alu instid0(VALU_DEP_2) | instskip(SKIP_1) | instid1(VALU_DEP_2)
	v_dual_cndmask_b32 v8, v9, v12, s2 :: v_dual_cndmask_b32 v4, v4, v6, vcc_lo
	v_cndmask_b32_e32 v5, v5, v7, vcc_lo
	v_cmp_ne_u32_e32 vcc_lo, 0, v8
	s_delay_alu instid0(VALU_DEP_2)
	v_dual_cndmask_b32 v3, v3, v5 :: v_dual_cndmask_b32 v2, v2, v4
.LBB2_3:
	s_and_not1_saveexec_b32 s2, s3
	s_cbranch_execz .LBB2_5
; %bb.4:
	v_cvt_f32_u32_e32 v2, s14
	s_sub_co_i32 s3, 0, s14
	s_delay_alu instid0(VALU_DEP_1) | instskip(SKIP_1) | instid1(TRANS32_DEP_1)
	v_rcp_iflag_f32_e32 v2, v2
	v_nop
	v_mul_f32_e32 v2, 0x4f7ffffe, v2
	s_delay_alu instid0(VALU_DEP_1) | instskip(NEXT) | instid1(VALU_DEP_1)
	v_cvt_u32_f32_e32 v2, v2
	v_mul_lo_u32 v3, s3, v2
	s_delay_alu instid0(VALU_DEP_1) | instskip(NEXT) | instid1(VALU_DEP_1)
	v_mul_hi_u32 v3, v2, v3
	v_add_nc_u32_e32 v2, v2, v3
	s_delay_alu instid0(VALU_DEP_1) | instskip(NEXT) | instid1(VALU_DEP_1)
	v_mul_hi_u32 v2, v0, v2
	v_mul_lo_u32 v3, v2, s14
	s_delay_alu instid0(VALU_DEP_1) | instskip(NEXT) | instid1(VALU_DEP_1)
	v_dual_add_nc_u32 v4, 1, v2 :: v_dual_sub_nc_u32 v3, v0, v3
	v_subrev_nc_u32_e32 v5, s14, v3
	v_cmp_le_u32_e32 vcc_lo, s14, v3
	s_delay_alu instid0(VALU_DEP_2) | instskip(NEXT) | instid1(VALU_DEP_1)
	v_dual_cndmask_b32 v3, v3, v5 :: v_dual_cndmask_b32 v2, v2, v4
	v_cmp_le_u32_e32 vcc_lo, s14, v3
	s_delay_alu instid0(VALU_DEP_2) | instskip(NEXT) | instid1(VALU_DEP_1)
	v_dual_mov_b32 v3, 0 :: v_dual_add_nc_u32 v4, 1, v2
	v_cndmask_b32_e32 v2, v2, v4, vcc_lo
.LBB2_5:
	s_or_b32 exec_lo, exec_lo, s2
	v_dual_mov_b32 v4, 0 :: v_dual_bitop2_b32 v5, s13, v1 bitop3:0x54
                                        ; implicit-def: $vgpr6_vgpr7
	s_mov_b32 s2, exec_lo
	s_delay_alu instid0(VALU_DEP_1)
	v_cmpx_ne_u64_e32 0, v[4:5]
	s_xor_b32 s3, exec_lo, s2
	s_cbranch_execz .LBB2_7
; %bb.6:
	s_cvt_f32_u32 s2, s12
	s_cvt_f32_u32 s4, s13
	s_sub_nc_u64 s[14:15], 0, s[12:13]
	s_mov_b32 s19, 0
	v_dual_mov_b32 v6, v0 :: v_dual_mov_b32 v7, v4
	s_fmamk_f32 s2, s4, 0x4f800000, s2
	v_dual_mov_b32 v8, v1 :: v_dual_mov_b32 v9, v4
	v_dual_mov_b32 v13, v4 :: v_dual_mov_b32 v5, v4
	s_delay_alu instid0(SALU_CYCLE_1) | instskip(NEXT) | instid1(TRANS32_DEP_1)
	v_s_rcp_f32 s2, s2
	s_mul_f32 s2, s2, 0x5f7ffffc
	s_delay_alu instid0(SALU_CYCLE_3) | instskip(NEXT) | instid1(SALU_CYCLE_3)
	s_mul_f32 s4, s2, 0x2f800000
	s_trunc_f32 s4, s4
	s_delay_alu instid0(SALU_CYCLE_3) | instskip(SKIP_1) | instid1(SALU_CYCLE_2)
	s_fmamk_f32 s2, s4, 0xcf800000, s2
	s_cvt_u32_f32 s5, s4
	s_cvt_u32_f32 s4, s2
	s_delay_alu instid0(SALU_CYCLE_3) | instskip(NEXT) | instid1(SALU_CYCLE_1)
	s_mul_u64 s[16:17], s[14:15], s[4:5]
	s_mul_hi_u32 s21, s4, s17
	s_mul_i32 s20, s4, s17
	s_mul_hi_u32 s18, s4, s16
	s_mul_i32 s22, s5, s16
	s_add_nc_u64 s[20:21], s[18:19], s[20:21]
	s_mul_hi_u32 s2, s5, s16
	s_mul_hi_u32 s23, s5, s17
	s_mul_i32 s16, s5, s17
	s_add_co_u32 s17, s20, s22
	s_add_co_ci_u32 s18, s21, s2
	s_add_co_ci_u32 s17, s23, 0
	s_delay_alu instid0(SALU_CYCLE_1) | instskip(NEXT) | instid1(SALU_CYCLE_1)
	s_add_nc_u64 s[16:17], s[18:19], s[16:17]
	s_add_co_u32 s4, s4, s16
	s_cselect_b32 s2, -1, 0
	s_delay_alu instid0(SALU_CYCLE_1) | instskip(SKIP_1) | instid1(SALU_CYCLE_1)
	s_cmp_lg_u32 s2, 0
	s_add_co_ci_u32 s5, s5, s17
	s_mul_u64 s[14:15], s[14:15], s[4:5]
	s_delay_alu instid0(SALU_CYCLE_1)
	s_mul_hi_u32 s17, s4, s15
	s_mul_i32 s16, s4, s15
	s_mul_hi_u32 s18, s4, s14
	s_mul_i32 s20, s5, s14
	s_add_nc_u64 s[16:17], s[18:19], s[16:17]
	s_mul_hi_u32 s2, s5, s14
	s_mul_hi_u32 s21, s5, s15
	s_mul_i32 s14, s5, s15
	s_add_co_u32 s15, s16, s20
	s_add_co_ci_u32 s18, s17, s2
	s_add_co_ci_u32 s15, s21, 0
	s_delay_alu instid0(SALU_CYCLE_1) | instskip(NEXT) | instid1(SALU_CYCLE_1)
	s_add_nc_u64 s[14:15], s[18:19], s[14:15]
	s_add_co_u32 s2, s4, s14
	s_cselect_b32 s4, -1, 0
	v_nop
	v_mul_hi_u32 v12, v0, s2
	s_cmp_lg_u32 s4, 0
	s_add_co_ci_u32 s18, s5, s15
	s_mov_b64 s[4:5], 0xffffffff
	v_mul_u64_e32 v[6:7], s[18:19], v[6:7]
	s_and_b64 s[4:5], s[2:3], s[4:5]
	s_delay_alu instid0(SALU_CYCLE_1) | instskip(SKIP_1) | instid1(VALU_DEP_3)
	v_mul_u64_e32 v[10:11], s[4:5], v[8:9]
	v_mul_u64_e32 v[8:9], s[18:19], v[8:9]
	v_add_nc_u64_e32 v[6:7], v[12:13], v[6:7]
	s_delay_alu instid0(VALU_DEP_1) | instskip(NEXT) | instid1(VALU_DEP_2)
	v_add_co_u32 v4, vcc_lo, v6, v10
	v_add_co_ci_u32_e32 v4, vcc_lo, v7, v11, vcc_lo
	s_delay_alu instid0(VALU_DEP_4) | instskip(NEXT) | instid1(VALU_DEP_1)
	v_add_co_ci_u32_e32 v9, vcc_lo, 0, v9, vcc_lo
	v_add_nc_u64_e32 v[4:5], v[4:5], v[8:9]
	s_delay_alu instid0(VALU_DEP_1) | instskip(NEXT) | instid1(VALU_DEP_1)
	v_mul_u64_e32 v[6:7], s[12:13], v[4:5]
	v_sub_nc_u32_e32 v8, v1, v7
	s_delay_alu instid0(VALU_DEP_2) | instskip(NEXT) | instid1(VALU_DEP_1)
	v_sub_co_u32 v6, vcc_lo, v0, v6
	v_sub_co_ci_u32_e64 v13, null, v1, v7, vcc_lo
	s_delay_alu instid0(VALU_DEP_3) | instskip(NEXT) | instid1(VALU_DEP_3)
	v_subrev_co_ci_u32_e64 v8, null, s13, v8, vcc_lo
	v_sub_co_u32 v10, s2, v6, s12
	v_cmp_le_u32_e32 vcc_lo, s12, v6
	s_delay_alu instid0(VALU_DEP_3) | instskip(NEXT) | instid1(VALU_DEP_3)
	v_subrev_co_ci_u32_e64 v11, null, 0, v8, s2
	v_cmp_le_u32_e64 s2, s12, v10
	v_add_nc_u64_e32 v[8:9], 2, v[4:5]
	v_cndmask_b32_e64 v14, 0, -1, vcc_lo
	s_delay_alu instid0(VALU_DEP_4) | instskip(SKIP_3) | instid1(VALU_DEP_1)
	v_cmp_eq_u32_e32 vcc_lo, s13, v11
	v_add_nc_u64_e32 v[6:7], 1, v[4:5]
	v_cndmask_b32_e64 v10, 0, -1, s2
	v_cmp_le_u32_e64 s2, s13, v11
	v_cndmask_b32_e64 v12, 0, -1, s2
	v_cmp_eq_u32_e64 s2, s13, v13
	s_delay_alu instid0(VALU_DEP_2) | instskip(SKIP_2) | instid1(VALU_DEP_3)
	v_cndmask_b32_e32 v10, v12, v10, vcc_lo
	v_cmp_le_u32_e32 vcc_lo, s13, v13
	v_cndmask_b32_e64 v11, 0, -1, vcc_lo
	v_cmp_ne_u32_e32 vcc_lo, 0, v10
	s_delay_alu instid0(VALU_DEP_2) | instskip(SKIP_1) | instid1(VALU_DEP_2)
	v_dual_cndmask_b32 v10, v11, v14, s2 :: v_dual_cndmask_b32 v6, v6, v8, vcc_lo
	v_cndmask_b32_e32 v7, v7, v9, vcc_lo
	v_cmp_ne_u32_e32 vcc_lo, 0, v10
	s_delay_alu instid0(VALU_DEP_2)
	v_dual_cndmask_b32 v6, v4, v6 :: v_dual_cndmask_b32 v7, v5, v7
.LBB2_7:
	s_and_not1_saveexec_b32 s2, s3
	s_cbranch_execz .LBB2_9
; %bb.8:
	v_cvt_f32_u32_e32 v4, s12
	s_sub_co_i32 s3, 0, s12
	s_delay_alu instid0(VALU_DEP_1) | instskip(SKIP_1) | instid1(TRANS32_DEP_1)
	v_rcp_iflag_f32_e32 v4, v4
	v_nop
	v_mul_f32_e32 v4, 0x4f7ffffe, v4
	s_delay_alu instid0(VALU_DEP_1) | instskip(NEXT) | instid1(VALU_DEP_1)
	v_cvt_u32_f32_e32 v4, v4
	v_mul_lo_u32 v5, s3, v4
	s_delay_alu instid0(VALU_DEP_1) | instskip(NEXT) | instid1(VALU_DEP_1)
	v_mul_hi_u32 v5, v4, v5
	v_add_nc_u32_e32 v4, v4, v5
	s_delay_alu instid0(VALU_DEP_1) | instskip(NEXT) | instid1(VALU_DEP_1)
	v_mul_hi_u32 v4, v0, v4
	v_mul_lo_u32 v5, v4, s12
	s_delay_alu instid0(VALU_DEP_1) | instskip(NEXT) | instid1(VALU_DEP_1)
	v_dual_add_nc_u32 v6, 1, v4 :: v_dual_sub_nc_u32 v5, v0, v5
	v_subrev_nc_u32_e32 v7, s12, v5
	v_cmp_le_u32_e32 vcc_lo, s12, v5
	s_delay_alu instid0(VALU_DEP_2) | instskip(NEXT) | instid1(VALU_DEP_4)
	v_dual_cndmask_b32 v5, v5, v7, vcc_lo :: v_dual_mov_b32 v7, 0
	v_cndmask_b32_e32 v4, v4, v6, vcc_lo
	s_delay_alu instid0(VALU_DEP_2) | instskip(NEXT) | instid1(VALU_DEP_2)
	v_cmp_le_u32_e32 vcc_lo, s12, v5
	v_add_nc_u32_e32 v6, 1, v4
	s_delay_alu instid0(VALU_DEP_1)
	v_cndmask_b32_e32 v6, v4, v6, vcc_lo
.LBB2_9:
	s_or_b32 exec_lo, exec_lo, s2
	s_delay_alu instid0(VALU_DEP_1) | instskip(SKIP_1) | instid1(VALU_DEP_1)
	v_dual_mov_b32 v8, 0 :: v_dual_bitop2_b32 v9, s7, v7 bitop3:0x54
                                        ; implicit-def: $vgpr4_vgpr5
	s_mov_b32 s2, exec_lo
	v_cmpx_ne_u64_e32 0, v[8:9]
	s_xor_b32 s3, exec_lo, s2
	s_cbranch_execz .LBB2_11
; %bb.10:
	s_cvt_f32_u32 s2, s6
	s_cvt_f32_u32 s4, s7
	s_sub_nc_u64 s[14:15], 0, s[6:7]
	s_mov_b32 s19, 0
	v_dual_mov_b32 v4, v6 :: v_dual_mov_b32 v5, v8
	s_fmamk_f32 s2, s4, 0x4f800000, s2
	v_dual_mov_b32 v10, v7 :: v_dual_mov_b32 v11, v8
	v_dual_mov_b32 v15, v8 :: v_dual_mov_b32 v9, v8
	s_delay_alu instid0(SALU_CYCLE_1) | instskip(NEXT) | instid1(TRANS32_DEP_1)
	v_s_rcp_f32 s2, s2
	s_mul_f32 s2, s2, 0x5f7ffffc
	s_delay_alu instid0(SALU_CYCLE_3) | instskip(NEXT) | instid1(SALU_CYCLE_3)
	s_mul_f32 s4, s2, 0x2f800000
	s_trunc_f32 s4, s4
	s_delay_alu instid0(SALU_CYCLE_3) | instskip(SKIP_1) | instid1(SALU_CYCLE_2)
	s_fmamk_f32 s2, s4, 0xcf800000, s2
	s_cvt_u32_f32 s5, s4
	s_cvt_u32_f32 s4, s2
	s_delay_alu instid0(SALU_CYCLE_3) | instskip(NEXT) | instid1(SALU_CYCLE_1)
	s_mul_u64 s[16:17], s[14:15], s[4:5]
	s_mul_hi_u32 s21, s4, s17
	s_mul_i32 s20, s4, s17
	s_mul_hi_u32 s18, s4, s16
	s_mul_i32 s22, s5, s16
	s_add_nc_u64 s[20:21], s[18:19], s[20:21]
	s_mul_hi_u32 s2, s5, s16
	s_mul_hi_u32 s23, s5, s17
	s_mul_i32 s16, s5, s17
	s_add_co_u32 s17, s20, s22
	s_add_co_ci_u32 s18, s21, s2
	s_add_co_ci_u32 s17, s23, 0
	s_delay_alu instid0(SALU_CYCLE_1) | instskip(NEXT) | instid1(SALU_CYCLE_1)
	s_add_nc_u64 s[16:17], s[18:19], s[16:17]
	s_add_co_u32 s4, s4, s16
	s_cselect_b32 s2, -1, 0
	s_delay_alu instid0(SALU_CYCLE_1) | instskip(SKIP_1) | instid1(SALU_CYCLE_1)
	s_cmp_lg_u32 s2, 0
	s_add_co_ci_u32 s5, s5, s17
	s_mul_u64 s[14:15], s[14:15], s[4:5]
	s_delay_alu instid0(SALU_CYCLE_1)
	s_mul_hi_u32 s17, s4, s15
	s_mul_i32 s16, s4, s15
	s_mul_hi_u32 s18, s4, s14
	s_mul_i32 s20, s5, s14
	s_add_nc_u64 s[16:17], s[18:19], s[16:17]
	s_mul_hi_u32 s2, s5, s14
	s_mul_hi_u32 s21, s5, s15
	s_mul_i32 s14, s5, s15
	s_add_co_u32 s15, s16, s20
	s_add_co_ci_u32 s18, s17, s2
	s_add_co_ci_u32 s15, s21, 0
	s_delay_alu instid0(SALU_CYCLE_1) | instskip(NEXT) | instid1(SALU_CYCLE_1)
	s_add_nc_u64 s[14:15], s[18:19], s[14:15]
	s_add_co_u32 s2, s4, s14
	s_cselect_b32 s4, -1, 0
	v_nop
	v_mul_hi_u32 v14, v6, s2
	s_cmp_lg_u32 s4, 0
	s_add_co_ci_u32 s18, s5, s15
	s_mov_b64 s[4:5], 0xffffffff
	v_mul_u64_e32 v[4:5], s[18:19], v[4:5]
	s_and_b64 s[4:5], s[2:3], s[4:5]
	s_delay_alu instid0(SALU_CYCLE_1) | instskip(SKIP_1) | instid1(VALU_DEP_3)
	v_mul_u64_e32 v[12:13], s[4:5], v[10:11]
	v_mul_u64_e32 v[10:11], s[18:19], v[10:11]
	v_add_nc_u64_e32 v[4:5], v[14:15], v[4:5]
	s_delay_alu instid0(VALU_DEP_1) | instskip(NEXT) | instid1(VALU_DEP_2)
	v_add_co_u32 v4, vcc_lo, v4, v12
	v_add_co_ci_u32_e32 v8, vcc_lo, v5, v13, vcc_lo
	s_delay_alu instid0(VALU_DEP_4) | instskip(NEXT) | instid1(VALU_DEP_1)
	v_add_co_ci_u32_e32 v11, vcc_lo, 0, v11, vcc_lo
	v_add_nc_u64_e32 v[4:5], v[8:9], v[10:11]
	s_delay_alu instid0(VALU_DEP_1) | instskip(NEXT) | instid1(VALU_DEP_1)
	v_mul_u64_e32 v[4:5], s[6:7], v[4:5]
	v_sub_nc_u32_e32 v8, v7, v5
	s_delay_alu instid0(VALU_DEP_2) | instskip(NEXT) | instid1(VALU_DEP_1)
	v_sub_co_u32 v4, vcc_lo, v6, v4
	v_sub_co_ci_u32_e64 v5, null, v7, v5, vcc_lo
	s_delay_alu instid0(VALU_DEP_3) | instskip(NEXT) | instid1(VALU_DEP_3)
	v_subrev_co_ci_u32_e64 v6, null, s7, v8, vcc_lo
	v_sub_co_u32 v7, vcc_lo, v4, s6
	v_cmp_le_u32_e64 s2, s6, v4
	s_delay_alu instid0(VALU_DEP_3) | instskip(SKIP_1) | instid1(VALU_DEP_3)
	v_subrev_co_ci_u32_e64 v8, null, 0, v6, vcc_lo
	v_subrev_co_ci_u32_e64 v6, null, s7, v6, vcc_lo
	v_cndmask_b32_e64 v9, 0, -1, s2
	v_cmp_le_u32_e64 s2, s6, v7
	v_cmp_le_u32_e32 vcc_lo, s7, v5
	s_delay_alu instid0(VALU_DEP_2) | instskip(SKIP_3) | instid1(VALU_DEP_3)
	v_cndmask_b32_e64 v10, 0, -1, s2
	v_cmp_le_u32_e64 s2, s7, v8
	v_cndmask_b32_e64 v12, 0, -1, vcc_lo
	v_cmp_eq_u32_e32 vcc_lo, s7, v8
	v_cndmask_b32_e64 v11, 0, -1, s2
	v_cmp_eq_u32_e64 s2, s7, v5
	s_delay_alu instid0(VALU_DEP_1) | instskip(SKIP_1) | instid1(VALU_DEP_1)
	v_dual_cndmask_b32 v10, v11, v10, vcc_lo :: v_dual_cndmask_b32 v9, v12, v9, s2
	v_sub_co_u32 v11, vcc_lo, v7, s6
	v_subrev_co_ci_u32_e64 v6, null, 0, v6, vcc_lo
	s_delay_alu instid0(VALU_DEP_3) | instskip(NEXT) | instid1(VALU_DEP_2)
	v_cmp_ne_u32_e32 vcc_lo, 0, v10
	v_dual_cndmask_b32 v6, v8, v6 :: v_dual_cndmask_b32 v7, v7, v11
	v_cmp_ne_u32_e32 vcc_lo, 0, v9
	s_delay_alu instid0(VALU_DEP_2)
	v_dual_cndmask_b32 v5, v5, v6 :: v_dual_cndmask_b32 v4, v4, v7
                                        ; implicit-def: $vgpr6_vgpr7
.LBB2_11:
	s_and_not1_saveexec_b32 s2, s3
	s_cbranch_execz .LBB2_13
; %bb.12:
	v_cvt_f32_u32_e32 v4, s6
	s_sub_co_i32 s3, 0, s6
	s_delay_alu instid0(VALU_DEP_1) | instskip(SKIP_1) | instid1(TRANS32_DEP_1)
	v_rcp_iflag_f32_e32 v4, v4
	v_nop
	v_mul_f32_e32 v4, 0x4f7ffffe, v4
	s_delay_alu instid0(VALU_DEP_1) | instskip(NEXT) | instid1(VALU_DEP_1)
	v_cvt_u32_f32_e32 v4, v4
	v_mul_lo_u32 v5, s3, v4
	s_delay_alu instid0(VALU_DEP_1) | instskip(NEXT) | instid1(VALU_DEP_1)
	v_mul_hi_u32 v5, v4, v5
	v_add_nc_u32_e32 v4, v4, v5
	s_delay_alu instid0(VALU_DEP_1) | instskip(NEXT) | instid1(VALU_DEP_1)
	v_mul_hi_u32 v4, v6, v4
	v_mul_lo_u32 v4, v4, s6
	s_delay_alu instid0(VALU_DEP_1) | instskip(NEXT) | instid1(VALU_DEP_1)
	v_sub_nc_u32_e32 v4, v6, v4
	v_subrev_nc_u32_e32 v5, s6, v4
	v_cmp_le_u32_e32 vcc_lo, s6, v4
	s_delay_alu instid0(VALU_DEP_2) | instskip(NEXT) | instid1(VALU_DEP_1)
	v_cndmask_b32_e32 v4, v4, v5, vcc_lo
	v_subrev_nc_u32_e32 v5, s6, v4
	v_cmp_le_u32_e32 vcc_lo, s6, v4
	s_delay_alu instid0(VALU_DEP_2)
	v_dual_cndmask_b32 v4, v4, v5 :: v_dual_mov_b32 v5, 0
.LBB2_13:
	s_or_b32 exec_lo, exec_lo, s2
	v_dual_mov_b32 v8, 0 :: v_dual_bitop2_b32 v9, s11, v1 bitop3:0x54
                                        ; implicit-def: $vgpr6_vgpr7
	s_mov_b32 s2, exec_lo
	s_delay_alu instid0(VALU_DEP_1)
	v_cmpx_ne_u64_e32 0, v[8:9]
	s_xor_b32 s3, exec_lo, s2
	s_cbranch_execz .LBB2_15
; %bb.14:
	s_cvt_f32_u32 s2, s10
	s_cvt_f32_u32 s4, s11
	s_sub_nc_u64 s[14:15], 0, s[10:11]
	s_mov_b32 s19, 0
	v_dual_mov_b32 v6, v0 :: v_dual_mov_b32 v7, v8
	s_fmamk_f32 s2, s4, 0x4f800000, s2
	v_dual_mov_b32 v10, v1 :: v_dual_mov_b32 v11, v8
	v_dual_mov_b32 v15, v8 :: v_dual_mov_b32 v9, v8
	s_delay_alu instid0(SALU_CYCLE_1) | instskip(NEXT) | instid1(TRANS32_DEP_1)
	v_s_rcp_f32 s2, s2
	s_mul_f32 s2, s2, 0x5f7ffffc
	s_delay_alu instid0(SALU_CYCLE_3) | instskip(NEXT) | instid1(SALU_CYCLE_3)
	s_mul_f32 s4, s2, 0x2f800000
	s_trunc_f32 s4, s4
	s_delay_alu instid0(SALU_CYCLE_3) | instskip(SKIP_1) | instid1(SALU_CYCLE_2)
	s_fmamk_f32 s2, s4, 0xcf800000, s2
	s_cvt_u32_f32 s5, s4
	s_cvt_u32_f32 s4, s2
	s_delay_alu instid0(SALU_CYCLE_3) | instskip(NEXT) | instid1(SALU_CYCLE_1)
	s_mul_u64 s[16:17], s[14:15], s[4:5]
	s_mul_hi_u32 s21, s4, s17
	s_mul_i32 s20, s4, s17
	s_mul_hi_u32 s18, s4, s16
	s_mul_i32 s22, s5, s16
	s_add_nc_u64 s[20:21], s[18:19], s[20:21]
	s_mul_hi_u32 s2, s5, s16
	s_mul_hi_u32 s23, s5, s17
	s_mul_i32 s16, s5, s17
	s_add_co_u32 s17, s20, s22
	s_add_co_ci_u32 s18, s21, s2
	s_add_co_ci_u32 s17, s23, 0
	s_delay_alu instid0(SALU_CYCLE_1) | instskip(NEXT) | instid1(SALU_CYCLE_1)
	s_add_nc_u64 s[16:17], s[18:19], s[16:17]
	s_add_co_u32 s4, s4, s16
	s_cselect_b32 s2, -1, 0
	s_delay_alu instid0(SALU_CYCLE_1) | instskip(SKIP_1) | instid1(SALU_CYCLE_1)
	s_cmp_lg_u32 s2, 0
	s_add_co_ci_u32 s5, s5, s17
	s_mul_u64 s[14:15], s[14:15], s[4:5]
	s_delay_alu instid0(SALU_CYCLE_1)
	s_mul_hi_u32 s17, s4, s15
	s_mul_i32 s16, s4, s15
	s_mul_hi_u32 s18, s4, s14
	s_mul_i32 s20, s5, s14
	s_add_nc_u64 s[16:17], s[18:19], s[16:17]
	s_mul_hi_u32 s2, s5, s14
	s_mul_hi_u32 s21, s5, s15
	s_mul_i32 s14, s5, s15
	s_add_co_u32 s15, s16, s20
	s_add_co_ci_u32 s18, s17, s2
	s_add_co_ci_u32 s15, s21, 0
	s_delay_alu instid0(SALU_CYCLE_1) | instskip(NEXT) | instid1(SALU_CYCLE_1)
	s_add_nc_u64 s[14:15], s[18:19], s[14:15]
	s_add_co_u32 s2, s4, s14
	s_cselect_b32 s4, -1, 0
	v_nop
	v_mul_hi_u32 v14, v0, s2
	s_cmp_lg_u32 s4, 0
	s_add_co_ci_u32 s18, s5, s15
	s_mov_b64 s[4:5], 0xffffffff
	v_mul_u64_e32 v[6:7], s[18:19], v[6:7]
	s_and_b64 s[4:5], s[2:3], s[4:5]
	s_delay_alu instid0(SALU_CYCLE_1) | instskip(SKIP_1) | instid1(VALU_DEP_3)
	v_mul_u64_e32 v[12:13], s[4:5], v[10:11]
	v_mul_u64_e32 v[10:11], s[18:19], v[10:11]
	v_add_nc_u64_e32 v[6:7], v[14:15], v[6:7]
	s_delay_alu instid0(VALU_DEP_1) | instskip(NEXT) | instid1(VALU_DEP_2)
	v_add_co_u32 v6, vcc_lo, v6, v12
	v_add_co_ci_u32_e32 v8, vcc_lo, v7, v13, vcc_lo
	s_delay_alu instid0(VALU_DEP_4) | instskip(NEXT) | instid1(VALU_DEP_1)
	v_add_co_ci_u32_e32 v11, vcc_lo, 0, v11, vcc_lo
	v_add_nc_u64_e32 v[6:7], v[8:9], v[10:11]
	s_delay_alu instid0(VALU_DEP_1) | instskip(NEXT) | instid1(VALU_DEP_1)
	v_mul_u64_e32 v[8:9], s[10:11], v[6:7]
	v_sub_nc_u32_e32 v10, v1, v9
	s_delay_alu instid0(VALU_DEP_2) | instskip(NEXT) | instid1(VALU_DEP_1)
	v_sub_co_u32 v8, vcc_lo, v0, v8
	v_sub_co_ci_u32_e64 v15, null, v1, v9, vcc_lo
	s_delay_alu instid0(VALU_DEP_3) | instskip(NEXT) | instid1(VALU_DEP_3)
	v_subrev_co_ci_u32_e64 v10, null, s11, v10, vcc_lo
	v_sub_co_u32 v12, s2, v8, s10
	v_cmp_le_u32_e32 vcc_lo, s10, v8
	s_delay_alu instid0(VALU_DEP_3) | instskip(NEXT) | instid1(VALU_DEP_3)
	v_subrev_co_ci_u32_e64 v13, null, 0, v10, s2
	v_cmp_le_u32_e64 s2, s10, v12
	v_add_nc_u64_e32 v[10:11], 2, v[6:7]
	v_cndmask_b32_e64 v16, 0, -1, vcc_lo
	s_delay_alu instid0(VALU_DEP_4) | instskip(SKIP_3) | instid1(VALU_DEP_1)
	v_cmp_eq_u32_e32 vcc_lo, s11, v13
	v_add_nc_u64_e32 v[8:9], 1, v[6:7]
	v_cndmask_b32_e64 v12, 0, -1, s2
	v_cmp_le_u32_e64 s2, s11, v13
	v_cndmask_b32_e64 v14, 0, -1, s2
	v_cmp_eq_u32_e64 s2, s11, v15
	s_delay_alu instid0(VALU_DEP_2) | instskip(SKIP_2) | instid1(VALU_DEP_3)
	v_cndmask_b32_e32 v12, v14, v12, vcc_lo
	v_cmp_le_u32_e32 vcc_lo, s11, v15
	v_cndmask_b32_e64 v13, 0, -1, vcc_lo
	v_cmp_ne_u32_e32 vcc_lo, 0, v12
	s_delay_alu instid0(VALU_DEP_2) | instskip(SKIP_1) | instid1(VALU_DEP_2)
	v_dual_cndmask_b32 v12, v13, v16, s2 :: v_dual_cndmask_b32 v8, v8, v10, vcc_lo
	v_cndmask_b32_e32 v9, v9, v11, vcc_lo
	v_cmp_ne_u32_e32 vcc_lo, 0, v12
	s_delay_alu instid0(VALU_DEP_2)
	v_dual_cndmask_b32 v6, v6, v8 :: v_dual_cndmask_b32 v7, v7, v9
.LBB2_15:
	s_and_not1_saveexec_b32 s2, s3
	s_cbranch_execz .LBB2_17
; %bb.16:
	v_cvt_f32_u32_e32 v6, s10
	s_sub_co_i32 s3, 0, s10
	s_delay_alu instid0(VALU_DEP_1) | instskip(SKIP_1) | instid1(TRANS32_DEP_1)
	v_rcp_iflag_f32_e32 v6, v6
	v_nop
	v_mul_f32_e32 v6, 0x4f7ffffe, v6
	s_delay_alu instid0(VALU_DEP_1) | instskip(NEXT) | instid1(VALU_DEP_1)
	v_cvt_u32_f32_e32 v6, v6
	v_mul_lo_u32 v7, s3, v6
	s_delay_alu instid0(VALU_DEP_1) | instskip(NEXT) | instid1(VALU_DEP_1)
	v_mul_hi_u32 v7, v6, v7
	v_add_nc_u32_e32 v6, v6, v7
	s_delay_alu instid0(VALU_DEP_1) | instskip(NEXT) | instid1(VALU_DEP_1)
	v_mul_hi_u32 v6, v0, v6
	v_mul_lo_u32 v7, v6, s10
	s_delay_alu instid0(VALU_DEP_1) | instskip(NEXT) | instid1(VALU_DEP_1)
	v_dual_add_nc_u32 v8, 1, v6 :: v_dual_sub_nc_u32 v7, v0, v7
	v_subrev_nc_u32_e32 v9, s10, v7
	v_cmp_le_u32_e32 vcc_lo, s10, v7
	s_delay_alu instid0(VALU_DEP_2) | instskip(NEXT) | instid1(VALU_DEP_1)
	v_dual_cndmask_b32 v7, v7, v9 :: v_dual_cndmask_b32 v6, v6, v8
	v_cmp_le_u32_e32 vcc_lo, s10, v7
	s_delay_alu instid0(VALU_DEP_2) | instskip(NEXT) | instid1(VALU_DEP_1)
	v_dual_mov_b32 v7, 0 :: v_dual_add_nc_u32 v8, 1, v6
	v_cndmask_b32_e32 v6, v6, v8, vcc_lo
.LBB2_17:
	s_or_b32 exec_lo, exec_lo, s2
	s_delay_alu instid0(VALU_DEP_1) | instskip(SKIP_1) | instid1(VALU_DEP_1)
	v_dual_mov_b32 v8, 0 :: v_dual_bitop2_b32 v9, s9, v7 bitop3:0x54
                                        ; implicit-def: $vgpr10_vgpr11
	s_mov_b32 s2, exec_lo
	v_cmpx_ne_u64_e32 0, v[8:9]
	s_xor_b32 s3, exec_lo, s2
	s_cbranch_execz .LBB2_19
; %bb.18:
	s_cvt_f32_u32 s2, s8
	s_cvt_f32_u32 s4, s9
	s_sub_nc_u64 s[14:15], 0, s[8:9]
	s_mov_b32 s19, 0
	v_dual_mov_b32 v10, v6 :: v_dual_mov_b32 v11, v8
	s_fmamk_f32 s2, s4, 0x4f800000, s2
	v_dual_mov_b32 v12, v7 :: v_dual_mov_b32 v13, v8
	v_dual_mov_b32 v17, v8 :: v_dual_mov_b32 v9, v8
	s_delay_alu instid0(SALU_CYCLE_1) | instskip(NEXT) | instid1(TRANS32_DEP_1)
	v_s_rcp_f32 s2, s2
	s_mul_f32 s2, s2, 0x5f7ffffc
	s_delay_alu instid0(SALU_CYCLE_3) | instskip(NEXT) | instid1(SALU_CYCLE_3)
	s_mul_f32 s4, s2, 0x2f800000
	s_trunc_f32 s4, s4
	s_delay_alu instid0(SALU_CYCLE_3) | instskip(SKIP_1) | instid1(SALU_CYCLE_2)
	s_fmamk_f32 s2, s4, 0xcf800000, s2
	s_cvt_u32_f32 s5, s4
	s_cvt_u32_f32 s4, s2
	s_delay_alu instid0(SALU_CYCLE_3) | instskip(NEXT) | instid1(SALU_CYCLE_1)
	s_mul_u64 s[16:17], s[14:15], s[4:5]
	s_mul_hi_u32 s21, s4, s17
	s_mul_i32 s20, s4, s17
	s_mul_hi_u32 s18, s4, s16
	s_mul_i32 s22, s5, s16
	s_add_nc_u64 s[20:21], s[18:19], s[20:21]
	s_mul_hi_u32 s2, s5, s16
	s_mul_hi_u32 s23, s5, s17
	s_mul_i32 s16, s5, s17
	s_add_co_u32 s17, s20, s22
	s_add_co_ci_u32 s18, s21, s2
	s_add_co_ci_u32 s17, s23, 0
	s_delay_alu instid0(SALU_CYCLE_1) | instskip(NEXT) | instid1(SALU_CYCLE_1)
	s_add_nc_u64 s[16:17], s[18:19], s[16:17]
	s_add_co_u32 s4, s4, s16
	s_cselect_b32 s2, -1, 0
	s_delay_alu instid0(SALU_CYCLE_1) | instskip(SKIP_1) | instid1(SALU_CYCLE_1)
	s_cmp_lg_u32 s2, 0
	s_add_co_ci_u32 s5, s5, s17
	s_mul_u64 s[14:15], s[14:15], s[4:5]
	s_delay_alu instid0(SALU_CYCLE_1)
	s_mul_hi_u32 s17, s4, s15
	s_mul_i32 s16, s4, s15
	s_mul_hi_u32 s18, s4, s14
	s_mul_i32 s20, s5, s14
	s_add_nc_u64 s[16:17], s[18:19], s[16:17]
	s_mul_hi_u32 s2, s5, s14
	s_mul_hi_u32 s21, s5, s15
	s_mul_i32 s14, s5, s15
	s_add_co_u32 s15, s16, s20
	s_add_co_ci_u32 s18, s17, s2
	s_add_co_ci_u32 s15, s21, 0
	s_delay_alu instid0(SALU_CYCLE_1) | instskip(NEXT) | instid1(SALU_CYCLE_1)
	s_add_nc_u64 s[14:15], s[18:19], s[14:15]
	s_add_co_u32 s2, s4, s14
	s_cselect_b32 s4, -1, 0
	v_nop
	v_mul_hi_u32 v16, v6, s2
	s_cmp_lg_u32 s4, 0
	s_add_co_ci_u32 s18, s5, s15
	s_mov_b64 s[4:5], 0xffffffff
	v_mul_u64_e32 v[10:11], s[18:19], v[10:11]
	s_and_b64 s[4:5], s[2:3], s[4:5]
	s_delay_alu instid0(SALU_CYCLE_1) | instskip(SKIP_1) | instid1(VALU_DEP_3)
	v_mul_u64_e32 v[14:15], s[4:5], v[12:13]
	v_mul_u64_e32 v[12:13], s[18:19], v[12:13]
	v_add_nc_u64_e32 v[10:11], v[16:17], v[10:11]
	s_delay_alu instid0(VALU_DEP_1) | instskip(NEXT) | instid1(VALU_DEP_2)
	v_add_co_u32 v8, vcc_lo, v10, v14
	v_add_co_ci_u32_e32 v8, vcc_lo, v11, v15, vcc_lo
	s_delay_alu instid0(VALU_DEP_4) | instskip(NEXT) | instid1(VALU_DEP_1)
	v_add_co_ci_u32_e32 v13, vcc_lo, 0, v13, vcc_lo
	v_add_nc_u64_e32 v[8:9], v[8:9], v[12:13]
	s_delay_alu instid0(VALU_DEP_1) | instskip(NEXT) | instid1(VALU_DEP_1)
	v_mul_u64_e32 v[8:9], s[8:9], v[8:9]
	v_sub_nc_u32_e32 v10, v7, v9
	s_delay_alu instid0(VALU_DEP_2) | instskip(NEXT) | instid1(VALU_DEP_1)
	v_sub_co_u32 v8, vcc_lo, v6, v8
	v_sub_co_ci_u32_e64 v9, null, v7, v9, vcc_lo
	s_delay_alu instid0(VALU_DEP_3) | instskip(NEXT) | instid1(VALU_DEP_3)
	v_subrev_co_ci_u32_e64 v10, null, s9, v10, vcc_lo
	v_sub_co_u32 v11, vcc_lo, v8, s8
	v_cmp_le_u32_e64 s2, s8, v8
	s_delay_alu instid0(VALU_DEP_3) | instskip(SKIP_1) | instid1(VALU_DEP_3)
	v_subrev_co_ci_u32_e64 v12, null, 0, v10, vcc_lo
	v_subrev_co_ci_u32_e64 v10, null, s9, v10, vcc_lo
	v_cndmask_b32_e64 v13, 0, -1, s2
	v_cmp_le_u32_e64 s2, s8, v11
	v_cmp_le_u32_e32 vcc_lo, s9, v9
	s_delay_alu instid0(VALU_DEP_2) | instskip(SKIP_3) | instid1(VALU_DEP_3)
	v_cndmask_b32_e64 v14, 0, -1, s2
	v_cmp_le_u32_e64 s2, s9, v12
	v_cndmask_b32_e64 v16, 0, -1, vcc_lo
	v_cmp_eq_u32_e32 vcc_lo, s9, v12
	v_cndmask_b32_e64 v15, 0, -1, s2
	v_cmp_eq_u32_e64 s2, s9, v9
	s_delay_alu instid0(VALU_DEP_1) | instskip(SKIP_1) | instid1(VALU_DEP_1)
	v_dual_cndmask_b32 v14, v15, v14, vcc_lo :: v_dual_cndmask_b32 v13, v16, v13, s2
	v_sub_co_u32 v15, vcc_lo, v11, s8
	v_subrev_co_ci_u32_e64 v10, null, 0, v10, vcc_lo
	s_delay_alu instid0(VALU_DEP_3) | instskip(NEXT) | instid1(VALU_DEP_2)
	v_cmp_ne_u32_e32 vcc_lo, 0, v14
	v_dual_cndmask_b32 v10, v12, v10, vcc_lo :: v_dual_cndmask_b32 v12, v11, v15, vcc_lo
	v_cmp_ne_u32_e32 vcc_lo, 0, v13
	s_delay_alu instid0(VALU_DEP_2)
	v_dual_cndmask_b32 v11, v9, v10 :: v_dual_cndmask_b32 v10, v8, v12
.LBB2_19:
	s_or_saveexec_b32 s4, s3
	s_load_b128 s[0:3], s[0:1], 0x0
	s_xor_b32 exec_lo, exec_lo, s4
	s_cbranch_execz .LBB2_21
; %bb.20:
	v_cvt_f32_u32_e32 v8, s8
	s_sub_co_i32 s5, 0, s8
	v_mov_b32_e32 v11, 0
	s_delay_alu instid0(VALU_DEP_2) | instskip(SKIP_1) | instid1(TRANS32_DEP_1)
	v_rcp_iflag_f32_e32 v8, v8
	v_nop
	v_mul_f32_e32 v8, 0x4f7ffffe, v8
	s_delay_alu instid0(VALU_DEP_1) | instskip(NEXT) | instid1(VALU_DEP_1)
	v_cvt_u32_f32_e32 v8, v8
	v_mul_lo_u32 v9, s5, v8
	s_delay_alu instid0(VALU_DEP_1) | instskip(NEXT) | instid1(VALU_DEP_1)
	v_mul_hi_u32 v9, v8, v9
	v_add_nc_u32_e32 v8, v8, v9
	s_delay_alu instid0(VALU_DEP_1) | instskip(NEXT) | instid1(VALU_DEP_1)
	v_mul_hi_u32 v8, v6, v8
	v_mul_lo_u32 v8, v8, s8
	s_delay_alu instid0(VALU_DEP_1) | instskip(NEXT) | instid1(VALU_DEP_1)
	v_sub_nc_u32_e32 v8, v6, v8
	v_subrev_nc_u32_e32 v9, s8, v8
	v_cmp_le_u32_e32 vcc_lo, s8, v8
	s_delay_alu instid0(VALU_DEP_2) | instskip(NEXT) | instid1(VALU_DEP_1)
	v_cndmask_b32_e32 v8, v8, v9, vcc_lo
	v_subrev_nc_u32_e32 v9, s8, v8
	v_cmp_le_u32_e32 vcc_lo, s8, v8
	s_delay_alu instid0(VALU_DEP_2)
	v_cndmask_b32_e32 v10, v8, v9, vcc_lo
.LBB2_21:
	s_or_b32 exec_lo, exec_lo, s4
	v_mad_nc_u64_u32 v[4:5], v2, s6, v[4:5]
	s_delay_alu instid0(VALU_DEP_1) | instskip(NEXT) | instid1(VALU_DEP_1)
	v_mad_u32 v3, v3, s6, v5
	v_mad_u32 v5, v2, s7, v3
	s_delay_alu instid0(VALU_DEP_1) | instskip(SKIP_3) | instid1(VALU_DEP_3)
	v_mul_u64_e32 v[2:3], s[12:13], v[4:5]
	v_mul_u64_e32 v[4:5], s[10:11], v[6:7]
	;; [unrolled: 1-line block ×3, first 2 shown]
	s_wait_kmcnt 0x0
	v_lshl_add_u64 v[8:9], v[2:3], 4, s[0:1]
	s_delay_alu instid0(VALU_DEP_3) | instskip(SKIP_1) | instid1(VALU_DEP_3)
	v_sub_nc_u64_e32 v[0:1], v[0:1], v[4:5]
	v_lshl_add_u64 v[2:3], v[2:3], 2, s[2:3]
	v_lshl_add_u64 v[4:5], v[6:7], 4, v[8:9]
	s_delay_alu instid0(VALU_DEP_2) | instskip(NEXT) | instid1(VALU_DEP_2)
	v_lshl_add_u64 v[2:3], v[6:7], 2, v[2:3]
	v_lshl_add_u64 v[4:5], v[0:1], 3, v[4:5]
	s_delay_alu instid0(VALU_DEP_2)
	v_lshl_add_u64 v[0:1], v[0:1], 2, v[2:3]
	global_load_b64 v[8:9], v[4:5], off
	s_wait_xcnt 0x0
	v_lshl_add_u64 v[4:5], s[10:11], 3, v[4:5]
	global_load_b64 v[4:5], v[4:5], off
	s_wait_loadcnt 0x1
	v_add_f32_e32 v8, 0, v8
	s_delay_alu instid0(VALU_DEP_1) | instskip(SKIP_1) | instid1(VALU_DEP_1)
	v_add_f32_e32 v8, v8, v9
	s_wait_loadcnt 0x0
	v_add_f32_e32 v4, v8, v4
	s_delay_alu instid0(VALU_DEP_1)
	v_add_f32_e32 v4, v4, v5
	global_store_b32 v[0:1], v4, off
.LBB2_22:
	s_endpgm
	.section	.rodata,"a",@progbits
	.p2align	6, 0x0
	.amdhsa_kernel _Z24upsample_backward_kernelPKfPfmmmm
		.amdhsa_group_segment_fixed_size 0
		.amdhsa_private_segment_fixed_size 0
		.amdhsa_kernarg_size 304
		.amdhsa_user_sgpr_count 2
		.amdhsa_user_sgpr_dispatch_ptr 0
		.amdhsa_user_sgpr_queue_ptr 0
		.amdhsa_user_sgpr_kernarg_segment_ptr 1
		.amdhsa_user_sgpr_dispatch_id 0
		.amdhsa_user_sgpr_kernarg_preload_length 0
		.amdhsa_user_sgpr_kernarg_preload_offset 0
		.amdhsa_user_sgpr_private_segment_size 0
		.amdhsa_wavefront_size32 1
		.amdhsa_uses_dynamic_stack 0
		.amdhsa_enable_private_segment 0
		.amdhsa_system_sgpr_workgroup_id_x 1
		.amdhsa_system_sgpr_workgroup_id_y 0
		.amdhsa_system_sgpr_workgroup_id_z 0
		.amdhsa_system_sgpr_workgroup_info 0
		.amdhsa_system_vgpr_workitem_id 0
		.amdhsa_next_free_vgpr 18
		.amdhsa_next_free_sgpr 26
		.amdhsa_named_barrier_count 0
		.amdhsa_reserve_vcc 1
		.amdhsa_float_round_mode_32 0
		.amdhsa_float_round_mode_16_64 0
		.amdhsa_float_denorm_mode_32 3
		.amdhsa_float_denorm_mode_16_64 3
		.amdhsa_fp16_overflow 0
		.amdhsa_memory_ordered 1
		.amdhsa_forward_progress 1
		.amdhsa_inst_pref_size 31
		.amdhsa_round_robin_scheduling 0
		.amdhsa_exception_fp_ieee_invalid_op 0
		.amdhsa_exception_fp_denorm_src 0
		.amdhsa_exception_fp_ieee_div_zero 0
		.amdhsa_exception_fp_ieee_overflow 0
		.amdhsa_exception_fp_ieee_underflow 0
		.amdhsa_exception_fp_ieee_inexact 0
		.amdhsa_exception_int_div_zero 0
	.end_amdhsa_kernel
	.text
.Lfunc_end2:
	.size	_Z24upsample_backward_kernelPKfPfmmmm, .Lfunc_end2-_Z24upsample_backward_kernelPKfPfmmmm
                                        ; -- End function
	.set _Z24upsample_backward_kernelPKfPfmmmm.num_vgpr, 18
	.set _Z24upsample_backward_kernelPKfPfmmmm.num_agpr, 0
	.set _Z24upsample_backward_kernelPKfPfmmmm.numbered_sgpr, 26
	.set _Z24upsample_backward_kernelPKfPfmmmm.num_named_barrier, 0
	.set _Z24upsample_backward_kernelPKfPfmmmm.private_seg_size, 0
	.set _Z24upsample_backward_kernelPKfPfmmmm.uses_vcc, 1
	.set _Z24upsample_backward_kernelPKfPfmmmm.uses_flat_scratch, 0
	.set _Z24upsample_backward_kernelPKfPfmmmm.has_dyn_sized_stack, 0
	.set _Z24upsample_backward_kernelPKfPfmmmm.has_recursion, 0
	.set _Z24upsample_backward_kernelPKfPfmmmm.has_indirect_call, 0
	.section	.AMDGPU.csdata,"",@progbits
; Kernel info:
; codeLenInByte = 3868
; TotalNumSgprs: 28
; NumVgprs: 18
; ScratchSize: 0
; MemoryBound: 0
; FloatMode: 240
; IeeeMode: 1
; LDSByteSize: 0 bytes/workgroup (compile time only)
; SGPRBlocks: 0
; VGPRBlocks: 1
; NumSGPRsForWavesPerEU: 28
; NumVGPRsForWavesPerEU: 18
; NamedBarCnt: 0
; Occupancy: 16
; WaveLimiterHint : 0
; COMPUTE_PGM_RSRC2:SCRATCH_EN: 0
; COMPUTE_PGM_RSRC2:USER_SGPR: 2
; COMPUTE_PGM_RSRC2:TRAP_HANDLER: 0
; COMPUTE_PGM_RSRC2:TGID_X_EN: 1
; COMPUTE_PGM_RSRC2:TGID_Y_EN: 0
; COMPUTE_PGM_RSRC2:TGID_Z_EN: 0
; COMPUTE_PGM_RSRC2:TIDIG_COMP_CNT: 0
	.text
	.protected	_Z25upsample_backward_kernel2PKfPfmmmm ; -- Begin function _Z25upsample_backward_kernel2PKfPfmmmm
	.globl	_Z25upsample_backward_kernel2PKfPfmmmm
	.p2align	8
	.type	_Z25upsample_backward_kernel2PKfPfmmmm,@function
_Z25upsample_backward_kernel2PKfPfmmmm: ; @_Z25upsample_backward_kernel2PKfPfmmmm
; %bb.0:
	s_clause 0x1
	s_load_b32 s2, s[0:1], 0x3c
	s_load_b64 s[8:9], s[0:1], 0x28
	s_bfe_u32 s3, ttmp6, 0x4000c
	s_and_b32 s4, ttmp6, 15
	s_add_co_i32 s3, s3, 1
	s_getreg_b32 s10, hwreg(HW_REG_IB_STS2, 6, 4)
	s_mul_i32 s3, ttmp9, s3
	v_and_b32_e32 v1, 0x3ff, v0
	s_add_co_i32 s4, s4, s3
	s_wait_kmcnt 0x0
	s_and_b32 s3, s2, 0xffff
	s_cmp_eq_u32 s10, 0
	s_cselect_b32 s4, ttmp9, s4
	s_delay_alu instid0(SALU_CYCLE_1) | instskip(SKIP_2) | instid1(VALU_DEP_1)
	v_mad_u32 v2, s4, s3, v1
	v_mov_b32_e32 v1, 0
	s_mov_b32 s3, exec_lo
	v_mov_b32_e32 v3, v1
	s_delay_alu instid0(VALU_DEP_1)
	v_cmpx_gt_u64_e64 s[8:9], v[2:3]
	s_cbranch_execz .LBB3_5
; %bb.1:
	s_bfe_u32 s3, ttmp6, 0x40010
	s_and_b32 s11, ttmp7, 0xffff
	s_add_co_i32 s3, s3, 1
	s_load_b128 s[4:7], s[0:1], 0x18
	s_mul_i32 s3, s11, s3
	s_bfe_u32 s12, ttmp6, 0x40004
	s_lshr_b32 s2, s2, 16
	s_add_co_i32 s12, s12, s3
	v_bfe_u32 v0, v0, 10, 10
	s_cmp_eq_u32 s10, 0
	s_cselect_b32 s3, s11, s12
	s_delay_alu instid0(VALU_DEP_1) | instid1(SALU_CYCLE_1)
	v_mad_u32 v0, s3, s2, v0
	s_wait_kmcnt 0x0
	s_delay_alu instid0(VALU_DEP_1)
	v_cmp_gt_u64_e32 vcc_lo, s[6:7], v[0:1]
	s_and_b32 exec_lo, exec_lo, vcc_lo
	s_cbranch_execz .LBB3_5
; %bb.2:
	s_bfe_u32 s2, ttmp6, 0x40014
	s_lshr_b32 s12, ttmp7, 16
	s_add_co_i32 s11, s2, 1
	s_load_b128 s[0:3], s[0:1], 0x0
	s_mul_i32 s11, s12, s11
	s_bfe_u32 s13, ttmp6, 0x40008
	s_delay_alu instid0(SALU_CYCLE_1) | instskip(SKIP_3) | instid1(SALU_CYCLE_1)
	s_add_co_i32 s13, s13, s11
	s_cmp_eq_u32 s10, 0
	s_mov_b32 s11, 0
	s_cselect_b32 s10, s12, s13
	v_cmp_lt_u64_e64 s12, s[10:11], s[4:5]
	s_and_b32 vcc_lo, exec_lo, s12
	s_mov_b64 s[12:13], 0
	s_cbranch_vccnz .LBB3_4
; %bb.3:
	v_cvt_f32_u32_e32 v4, s4
	s_sub_co_i32 s13, 0, s4
	s_delay_alu instid0(VALU_DEP_1) | instskip(SKIP_1) | instid1(TRANS32_DEP_1)
	v_rcp_iflag_f32_e32 v4, v4
	v_nop
	v_mul_f32_e32 v4, 0x4f7ffffe, v4
	s_delay_alu instid0(VALU_DEP_1) | instskip(NEXT) | instid1(VALU_DEP_1)
	v_cvt_u32_f32_e32 v4, v4
	v_readfirstlane_b32 s12, v4
	s_mul_i32 s13, s13, s12
	s_delay_alu instid0(SALU_CYCLE_1) | instskip(NEXT) | instid1(SALU_CYCLE_1)
	s_mul_hi_u32 s13, s12, s13
	s_add_co_i32 s12, s12, s13
	s_delay_alu instid0(SALU_CYCLE_1) | instskip(NEXT) | instid1(SALU_CYCLE_1)
	s_mul_hi_u32 s12, s10, s12
	s_mul_i32 s13, s12, s4
	s_add_co_i32 s14, s12, 1
	s_sub_co_i32 s13, s10, s13
	s_delay_alu instid0(SALU_CYCLE_1)
	s_sub_co_i32 s15, s13, s4
	s_cmp_ge_u32 s13, s4
	s_cselect_b32 s12, s14, s12
	s_cselect_b32 s13, s15, s13
	s_add_co_i32 s14, s12, 1
	s_cmp_ge_u32 s13, s4
	s_mov_b32 s13, s11
	s_cselect_b32 s12, s14, s12
.LBB3_4:
	v_dual_mov_b32 v5, 0 :: v_dual_lshlrev_b32 v4, 1, v0
	s_lshl_b64 s[14:15], s[8:9], 1
	s_mul_u64 s[4:5], s[12:13], s[4:5]
	v_mad_nc_u64_u32 v[0:1], s10, s6, v[0:1]
	s_delay_alu instid0(VALU_DEP_2)
	v_mul_u64_e32 v[6:7], s[14:15], v[4:5]
	s_mul_u64 s[14:15], s[6:7], s[14:15]
	v_lshlrev_b32_e32 v4, 1, v2
	s_lshl_b64 s[12:13], s[14:15], 1
	s_sub_nc_u64 s[14:15], s[10:11], s[4:5]
	s_mul_u64 s[4:5], s[4:5], s[12:13]
	s_mul_u64 s[12:13], s[12:13], s[14:15]
	s_lshl_b64 s[4:5], s[4:5], 2
	s_lshl_b64 s[12:13], s[12:13], 2
	s_wait_kmcnt 0x0
	s_add_nc_u64 s[0:1], s[0:1], s[4:5]
	v_mad_u32 v1, s10, s7, v1
	s_add_nc_u64 s[0:1], s[0:1], s[12:13]
	s_delay_alu instid0(VALU_DEP_1) | instskip(NEXT) | instid1(VALU_DEP_4)
	v_mul_u64_e32 v[0:1], s[8:9], v[0:1]
	v_lshl_add_u64 v[6:7], v[6:7], 2, s[0:1]
	s_delay_alu instid0(VALU_DEP_1) | instskip(NEXT) | instid1(VALU_DEP_1)
	v_lshl_add_u64 v[4:5], v[4:5], 2, v[6:7]
	v_lshl_add_u64 v[6:7], s[8:9], 3, v[4:5]
	s_clause 0x1
	global_load_b64 v[8:9], v[4:5], off
	global_load_b64 v[10:11], v[6:7], off
	v_lshl_add_u64 v[0:1], v[0:1], 2, s[2:3]
	s_delay_alu instid0(VALU_DEP_1) | instskip(SKIP_4) | instid1(VALU_DEP_1)
	v_lshl_add_u64 v[0:1], v[2:3], 2, v[0:1]
	s_wait_loadcnt 0x1
	s_wait_xcnt 0x1
	v_add_f32_e32 v4, v8, v9
	s_wait_loadcnt 0x0
	v_add_f32_e32 v4, v4, v10
	s_delay_alu instid0(VALU_DEP_1)
	v_add_f32_e32 v4, v4, v11
	global_store_b32 v[0:1], v4, off
.LBB3_5:
	s_endpgm
	.section	.rodata,"a",@progbits
	.p2align	6, 0x0
	.amdhsa_kernel _Z25upsample_backward_kernel2PKfPfmmmm
		.amdhsa_group_segment_fixed_size 0
		.amdhsa_private_segment_fixed_size 0
		.amdhsa_kernarg_size 304
		.amdhsa_user_sgpr_count 2
		.amdhsa_user_sgpr_dispatch_ptr 0
		.amdhsa_user_sgpr_queue_ptr 0
		.amdhsa_user_sgpr_kernarg_segment_ptr 1
		.amdhsa_user_sgpr_dispatch_id 0
		.amdhsa_user_sgpr_kernarg_preload_length 0
		.amdhsa_user_sgpr_kernarg_preload_offset 0
		.amdhsa_user_sgpr_private_segment_size 0
		.amdhsa_wavefront_size32 1
		.amdhsa_uses_dynamic_stack 0
		.amdhsa_enable_private_segment 0
		.amdhsa_system_sgpr_workgroup_id_x 1
		.amdhsa_system_sgpr_workgroup_id_y 1
		.amdhsa_system_sgpr_workgroup_id_z 1
		.amdhsa_system_sgpr_workgroup_info 0
		.amdhsa_system_vgpr_workitem_id 1
		.amdhsa_next_free_vgpr 12
		.amdhsa_next_free_sgpr 16
		.amdhsa_named_barrier_count 0
		.amdhsa_reserve_vcc 1
		.amdhsa_float_round_mode_32 0
		.amdhsa_float_round_mode_16_64 0
		.amdhsa_float_denorm_mode_32 3
		.amdhsa_float_denorm_mode_16_64 3
		.amdhsa_fp16_overflow 0
		.amdhsa_memory_ordered 1
		.amdhsa_forward_progress 1
		.amdhsa_inst_pref_size 5
		.amdhsa_round_robin_scheduling 0
		.amdhsa_exception_fp_ieee_invalid_op 0
		.amdhsa_exception_fp_denorm_src 0
		.amdhsa_exception_fp_ieee_div_zero 0
		.amdhsa_exception_fp_ieee_overflow 0
		.amdhsa_exception_fp_ieee_underflow 0
		.amdhsa_exception_fp_ieee_inexact 0
		.amdhsa_exception_int_div_zero 0
	.end_amdhsa_kernel
	.text
.Lfunc_end3:
	.size	_Z25upsample_backward_kernel2PKfPfmmmm, .Lfunc_end3-_Z25upsample_backward_kernel2PKfPfmmmm
                                        ; -- End function
	.set _Z25upsample_backward_kernel2PKfPfmmmm.num_vgpr, 12
	.set _Z25upsample_backward_kernel2PKfPfmmmm.num_agpr, 0
	.set _Z25upsample_backward_kernel2PKfPfmmmm.numbered_sgpr, 16
	.set _Z25upsample_backward_kernel2PKfPfmmmm.num_named_barrier, 0
	.set _Z25upsample_backward_kernel2PKfPfmmmm.private_seg_size, 0
	.set _Z25upsample_backward_kernel2PKfPfmmmm.uses_vcc, 1
	.set _Z25upsample_backward_kernel2PKfPfmmmm.uses_flat_scratch, 0
	.set _Z25upsample_backward_kernel2PKfPfmmmm.has_dyn_sized_stack, 0
	.set _Z25upsample_backward_kernel2PKfPfmmmm.has_recursion, 0
	.set _Z25upsample_backward_kernel2PKfPfmmmm.has_indirect_call, 0
	.section	.AMDGPU.csdata,"",@progbits
; Kernel info:
; codeLenInByte = 612
; TotalNumSgprs: 18
; NumVgprs: 12
; ScratchSize: 0
; MemoryBound: 0
; FloatMode: 240
; IeeeMode: 1
; LDSByteSize: 0 bytes/workgroup (compile time only)
; SGPRBlocks: 0
; VGPRBlocks: 0
; NumSGPRsForWavesPerEU: 18
; NumVGPRsForWavesPerEU: 12
; NamedBarCnt: 0
; Occupancy: 16
; WaveLimiterHint : 0
; COMPUTE_PGM_RSRC2:SCRATCH_EN: 0
; COMPUTE_PGM_RSRC2:USER_SGPR: 2
; COMPUTE_PGM_RSRC2:TRAP_HANDLER: 0
; COMPUTE_PGM_RSRC2:TGID_X_EN: 1
; COMPUTE_PGM_RSRC2:TGID_Y_EN: 1
; COMPUTE_PGM_RSRC2:TGID_Z_EN: 1
; COMPUTE_PGM_RSRC2:TIDIG_COMP_CNT: 1
	.text
	.p2alignl 7, 3214868480
	.fill 96, 4, 3214868480
	.section	.AMDGPU.gpr_maximums,"",@progbits
	.set amdgpu.max_num_vgpr, 0
	.set amdgpu.max_num_agpr, 0
	.set amdgpu.max_num_sgpr, 0
	.text
	.type	__hip_cuid_69e336999ccd11ac,@object ; @__hip_cuid_69e336999ccd11ac
	.section	.bss,"aw",@nobits
	.globl	__hip_cuid_69e336999ccd11ac
__hip_cuid_69e336999ccd11ac:
	.byte	0                               ; 0x0
	.size	__hip_cuid_69e336999ccd11ac, 1

	.ident	"AMD clang version 22.0.0git (https://github.com/RadeonOpenCompute/llvm-project roc-7.2.4 26084 f58b06dce1f9c15707c5f808fd002e18c2accf7e)"
	.section	".note.GNU-stack","",@progbits
	.addrsig
	.addrsig_sym __hip_cuid_69e336999ccd11ac
	.amdgpu_metadata
---
amdhsa.kernels:
  - .args:
      - .actual_access:  read_only
        .address_space:  global
        .offset:         0
        .size:           8
        .value_kind:     global_buffer
      - .actual_access:  write_only
        .address_space:  global
        .offset:         8
        .size:           8
        .value_kind:     global_buffer
      - .offset:         16
        .size:           8
        .value_kind:     by_value
      - .offset:         24
        .size:           8
        .value_kind:     by_value
      - .offset:         32
        .size:           8
        .value_kind:     by_value
      - .offset:         40
        .size:           8
        .value_kind:     by_value
      - .offset:         48
        .size:           4
        .value_kind:     hidden_block_count_x
      - .offset:         52
        .size:           4
        .value_kind:     hidden_block_count_y
      - .offset:         56
        .size:           4
        .value_kind:     hidden_block_count_z
      - .offset:         60
        .size:           2
        .value_kind:     hidden_group_size_x
      - .offset:         62
        .size:           2
        .value_kind:     hidden_group_size_y
      - .offset:         64
        .size:           2
        .value_kind:     hidden_group_size_z
      - .offset:         66
        .size:           2
        .value_kind:     hidden_remainder_x
      - .offset:         68
        .size:           2
        .value_kind:     hidden_remainder_y
      - .offset:         70
        .size:           2
        .value_kind:     hidden_remainder_z
      - .offset:         88
        .size:           8
        .value_kind:     hidden_global_offset_x
      - .offset:         96
        .size:           8
        .value_kind:     hidden_global_offset_y
      - .offset:         104
        .size:           8
        .value_kind:     hidden_global_offset_z
      - .offset:         112
        .size:           2
        .value_kind:     hidden_grid_dims
    .group_segment_fixed_size: 0
    .kernarg_segment_align: 8
    .kernarg_segment_size: 304
    .language:       OpenCL C
    .language_version:
      - 2
      - 0
    .max_flat_workgroup_size: 1024
    .name:           _Z23upsample_forward_kernelPKfPfmmmm
    .private_segment_fixed_size: 0
    .sgpr_count:     28
    .sgpr_spill_count: 0
    .symbol:         _Z23upsample_forward_kernelPKfPfmmmm.kd
    .uniform_work_group_size: 1
    .uses_dynamic_stack: false
    .vgpr_count:     18
    .vgpr_spill_count: 0
    .wavefront_size: 32
  - .args:
      - .actual_access:  read_only
        .address_space:  global
        .offset:         0
        .size:           8
        .value_kind:     global_buffer
      - .actual_access:  write_only
        .address_space:  global
        .offset:         8
        .size:           8
        .value_kind:     global_buffer
      - .offset:         16
        .size:           8
        .value_kind:     by_value
      - .offset:         24
        .size:           8
        .value_kind:     by_value
      - .offset:         32
        .size:           8
        .value_kind:     by_value
      - .offset:         40
        .size:           8
        .value_kind:     by_value
      - .offset:         48
        .size:           4
        .value_kind:     hidden_block_count_x
      - .offset:         52
        .size:           4
        .value_kind:     hidden_block_count_y
      - .offset:         56
        .size:           4
        .value_kind:     hidden_block_count_z
      - .offset:         60
        .size:           2
        .value_kind:     hidden_group_size_x
      - .offset:         62
        .size:           2
        .value_kind:     hidden_group_size_y
      - .offset:         64
        .size:           2
        .value_kind:     hidden_group_size_z
      - .offset:         66
        .size:           2
        .value_kind:     hidden_remainder_x
      - .offset:         68
        .size:           2
        .value_kind:     hidden_remainder_y
      - .offset:         70
        .size:           2
        .value_kind:     hidden_remainder_z
      - .offset:         88
        .size:           8
        .value_kind:     hidden_global_offset_x
      - .offset:         96
        .size:           8
        .value_kind:     hidden_global_offset_y
      - .offset:         104
        .size:           8
        .value_kind:     hidden_global_offset_z
      - .offset:         112
        .size:           2
        .value_kind:     hidden_grid_dims
    .group_segment_fixed_size: 0
    .kernarg_segment_align: 8
    .kernarg_segment_size: 304
    .language:       OpenCL C
    .language_version:
      - 2
      - 0
    .max_flat_workgroup_size: 1024
    .name:           _Z24upsample_forward_kernel2PKfPfmmmm
    .private_segment_fixed_size: 0
    .sgpr_count:     15
    .sgpr_spill_count: 0
    .symbol:         _Z24upsample_forward_kernel2PKfPfmmmm.kd
    .uniform_work_group_size: 1
    .uses_dynamic_stack: false
    .vgpr_count:     6
    .vgpr_spill_count: 0
    .wavefront_size: 32
  - .args:
      - .actual_access:  read_only
        .address_space:  global
        .offset:         0
        .size:           8
        .value_kind:     global_buffer
      - .actual_access:  write_only
        .address_space:  global
        .offset:         8
        .size:           8
        .value_kind:     global_buffer
      - .offset:         16
        .size:           8
        .value_kind:     by_value
      - .offset:         24
        .size:           8
        .value_kind:     by_value
      - .offset:         32
        .size:           8
        .value_kind:     by_value
      - .offset:         40
        .size:           8
        .value_kind:     by_value
      - .offset:         48
        .size:           4
        .value_kind:     hidden_block_count_x
      - .offset:         52
        .size:           4
        .value_kind:     hidden_block_count_y
      - .offset:         56
        .size:           4
        .value_kind:     hidden_block_count_z
      - .offset:         60
        .size:           2
        .value_kind:     hidden_group_size_x
      - .offset:         62
        .size:           2
        .value_kind:     hidden_group_size_y
      - .offset:         64
        .size:           2
        .value_kind:     hidden_group_size_z
      - .offset:         66
        .size:           2
        .value_kind:     hidden_remainder_x
      - .offset:         68
        .size:           2
        .value_kind:     hidden_remainder_y
      - .offset:         70
        .size:           2
        .value_kind:     hidden_remainder_z
      - .offset:         88
        .size:           8
        .value_kind:     hidden_global_offset_x
      - .offset:         96
        .size:           8
        .value_kind:     hidden_global_offset_y
      - .offset:         104
        .size:           8
        .value_kind:     hidden_global_offset_z
      - .offset:         112
        .size:           2
        .value_kind:     hidden_grid_dims
    .group_segment_fixed_size: 0
    .kernarg_segment_align: 8
    .kernarg_segment_size: 304
    .language:       OpenCL C
    .language_version:
      - 2
      - 0
    .max_flat_workgroup_size: 1024
    .name:           _Z24upsample_backward_kernelPKfPfmmmm
    .private_segment_fixed_size: 0
    .sgpr_count:     28
    .sgpr_spill_count: 0
    .symbol:         _Z24upsample_backward_kernelPKfPfmmmm.kd
    .uniform_work_group_size: 1
    .uses_dynamic_stack: false
    .vgpr_count:     18
    .vgpr_spill_count: 0
    .wavefront_size: 32
  - .args:
      - .actual_access:  read_only
        .address_space:  global
        .offset:         0
        .size:           8
        .value_kind:     global_buffer
      - .actual_access:  write_only
        .address_space:  global
        .offset:         8
        .size:           8
        .value_kind:     global_buffer
      - .offset:         16
        .size:           8
        .value_kind:     by_value
      - .offset:         24
        .size:           8
        .value_kind:     by_value
      - .offset:         32
        .size:           8
        .value_kind:     by_value
      - .offset:         40
        .size:           8
        .value_kind:     by_value
      - .offset:         48
        .size:           4
        .value_kind:     hidden_block_count_x
      - .offset:         52
        .size:           4
        .value_kind:     hidden_block_count_y
      - .offset:         56
        .size:           4
        .value_kind:     hidden_block_count_z
      - .offset:         60
        .size:           2
        .value_kind:     hidden_group_size_x
      - .offset:         62
        .size:           2
        .value_kind:     hidden_group_size_y
      - .offset:         64
        .size:           2
        .value_kind:     hidden_group_size_z
      - .offset:         66
        .size:           2
        .value_kind:     hidden_remainder_x
      - .offset:         68
        .size:           2
        .value_kind:     hidden_remainder_y
      - .offset:         70
        .size:           2
        .value_kind:     hidden_remainder_z
      - .offset:         88
        .size:           8
        .value_kind:     hidden_global_offset_x
      - .offset:         96
        .size:           8
        .value_kind:     hidden_global_offset_y
      - .offset:         104
        .size:           8
        .value_kind:     hidden_global_offset_z
      - .offset:         112
        .size:           2
        .value_kind:     hidden_grid_dims
    .group_segment_fixed_size: 0
    .kernarg_segment_align: 8
    .kernarg_segment_size: 304
    .language:       OpenCL C
    .language_version:
      - 2
      - 0
    .max_flat_workgroup_size: 1024
    .name:           _Z25upsample_backward_kernel2PKfPfmmmm
    .private_segment_fixed_size: 0
    .sgpr_count:     18
    .sgpr_spill_count: 0
    .symbol:         _Z25upsample_backward_kernel2PKfPfmmmm.kd
    .uniform_work_group_size: 1
    .uses_dynamic_stack: false
    .vgpr_count:     12
    .vgpr_spill_count: 0
    .wavefront_size: 32
amdhsa.target:   amdgcn-amd-amdhsa--gfx1250
amdhsa.version:
  - 1
  - 2
...

	.end_amdgpu_metadata
